;; amdgpu-corpus repo=ROCm/rocFFT kind=compiled arch=gfx1100 opt=O3
	.text
	.amdgcn_target "amdgcn-amd-amdhsa--gfx1100"
	.amdhsa_code_object_version 6
	.protected	fft_rtc_back_len1014_factors_13_6_13_wgs_156_tpt_78_dp_ip_CI_unitstride_sbrr_R2C_dirReg ; -- Begin function fft_rtc_back_len1014_factors_13_6_13_wgs_156_tpt_78_dp_ip_CI_unitstride_sbrr_R2C_dirReg
	.globl	fft_rtc_back_len1014_factors_13_6_13_wgs_156_tpt_78_dp_ip_CI_unitstride_sbrr_R2C_dirReg
	.p2align	8
	.type	fft_rtc_back_len1014_factors_13_6_13_wgs_156_tpt_78_dp_ip_CI_unitstride_sbrr_R2C_dirReg,@function
fft_rtc_back_len1014_factors_13_6_13_wgs_156_tpt_78_dp_ip_CI_unitstride_sbrr_R2C_dirReg: ; @fft_rtc_back_len1014_factors_13_6_13_wgs_156_tpt_78_dp_ip_CI_unitstride_sbrr_R2C_dirReg
; %bb.0:
	s_clause 0x2
	s_load_b128 s[4:7], s[0:1], 0x0
	s_load_b64 s[8:9], s[0:1], 0x50
	s_load_b64 s[10:11], s[0:1], 0x18
	v_mul_u32_u24_e32 v1, 0x349, v0
	v_mov_b32_e32 v3, 0
	v_mov_b32_e32 v4, 0
	s_delay_alu instid0(VALU_DEP_3) | instskip(SKIP_1) | instid1(VALU_DEP_2)
	v_lshrrev_b32_e32 v9, 16, v1
	v_mov_b32_e32 v1, 0
	v_lshl_add_u32 v5, s15, 1, v9
	s_delay_alu instid0(VALU_DEP_2) | instskip(SKIP_2) | instid1(VALU_DEP_1)
	v_mov_b32_e32 v6, v1
	s_waitcnt lgkmcnt(0)
	v_cmp_lt_u64_e64 s2, s[6:7], 2
	s_and_b32 vcc_lo, exec_lo, s2
	s_cbranch_vccnz .LBB0_8
; %bb.1:
	s_load_b64 s[2:3], s[0:1], 0x10
	v_mov_b32_e32 v3, 0
	s_add_u32 s12, s10, 8
	v_mov_b32_e32 v4, 0
	s_addc_u32 s13, s11, 0
	s_mov_b64 s[16:17], 1
	s_waitcnt lgkmcnt(0)
	s_add_u32 s14, s2, 8
	s_addc_u32 s15, s3, 0
.LBB0_2:                                ; =>This Inner Loop Header: Depth=1
	s_load_b64 s[18:19], s[14:15], 0x0
                                        ; implicit-def: $vgpr7_vgpr8
	s_mov_b32 s2, exec_lo
	s_waitcnt lgkmcnt(0)
	v_or_b32_e32 v2, s19, v6
	s_delay_alu instid0(VALU_DEP_1)
	v_cmpx_ne_u64_e32 0, v[1:2]
	s_xor_b32 s3, exec_lo, s2
	s_cbranch_execz .LBB0_4
; %bb.3:                                ;   in Loop: Header=BB0_2 Depth=1
	v_cvt_f32_u32_e32 v2, s18
	v_cvt_f32_u32_e32 v7, s19
	s_sub_u32 s2, 0, s18
	s_subb_u32 s20, 0, s19
	s_delay_alu instid0(VALU_DEP_1) | instskip(NEXT) | instid1(VALU_DEP_1)
	v_fmac_f32_e32 v2, 0x4f800000, v7
	v_rcp_f32_e32 v2, v2
	s_waitcnt_depctr 0xfff
	v_mul_f32_e32 v2, 0x5f7ffffc, v2
	s_delay_alu instid0(VALU_DEP_1) | instskip(NEXT) | instid1(VALU_DEP_1)
	v_mul_f32_e32 v7, 0x2f800000, v2
	v_trunc_f32_e32 v7, v7
	s_delay_alu instid0(VALU_DEP_1) | instskip(SKIP_1) | instid1(VALU_DEP_2)
	v_fmac_f32_e32 v2, 0xcf800000, v7
	v_cvt_u32_f32_e32 v7, v7
	v_cvt_u32_f32_e32 v2, v2
	s_delay_alu instid0(VALU_DEP_2) | instskip(NEXT) | instid1(VALU_DEP_2)
	v_mul_lo_u32 v8, s2, v7
	v_mul_hi_u32 v10, s2, v2
	v_mul_lo_u32 v11, s20, v2
	s_delay_alu instid0(VALU_DEP_2) | instskip(SKIP_1) | instid1(VALU_DEP_2)
	v_add_nc_u32_e32 v8, v10, v8
	v_mul_lo_u32 v10, s2, v2
	v_add_nc_u32_e32 v8, v8, v11
	s_delay_alu instid0(VALU_DEP_2) | instskip(NEXT) | instid1(VALU_DEP_2)
	v_mul_hi_u32 v11, v2, v10
	v_mul_lo_u32 v12, v2, v8
	v_mul_hi_u32 v13, v2, v8
	v_mul_hi_u32 v14, v7, v10
	v_mul_lo_u32 v10, v7, v10
	v_mul_hi_u32 v15, v7, v8
	v_mul_lo_u32 v8, v7, v8
	v_add_co_u32 v11, vcc_lo, v11, v12
	v_add_co_ci_u32_e32 v12, vcc_lo, 0, v13, vcc_lo
	s_delay_alu instid0(VALU_DEP_2) | instskip(NEXT) | instid1(VALU_DEP_2)
	v_add_co_u32 v10, vcc_lo, v11, v10
	v_add_co_ci_u32_e32 v10, vcc_lo, v12, v14, vcc_lo
	v_add_co_ci_u32_e32 v11, vcc_lo, 0, v15, vcc_lo
	s_delay_alu instid0(VALU_DEP_2) | instskip(NEXT) | instid1(VALU_DEP_2)
	v_add_co_u32 v8, vcc_lo, v10, v8
	v_add_co_ci_u32_e32 v10, vcc_lo, 0, v11, vcc_lo
	s_delay_alu instid0(VALU_DEP_2) | instskip(NEXT) | instid1(VALU_DEP_2)
	v_add_co_u32 v2, vcc_lo, v2, v8
	v_add_co_ci_u32_e32 v7, vcc_lo, v7, v10, vcc_lo
	s_delay_alu instid0(VALU_DEP_2) | instskip(SKIP_1) | instid1(VALU_DEP_3)
	v_mul_hi_u32 v8, s2, v2
	v_mul_lo_u32 v11, s20, v2
	v_mul_lo_u32 v10, s2, v7
	s_delay_alu instid0(VALU_DEP_1) | instskip(SKIP_1) | instid1(VALU_DEP_2)
	v_add_nc_u32_e32 v8, v8, v10
	v_mul_lo_u32 v10, s2, v2
	v_add_nc_u32_e32 v8, v8, v11
	s_delay_alu instid0(VALU_DEP_2) | instskip(NEXT) | instid1(VALU_DEP_2)
	v_mul_hi_u32 v11, v2, v10
	v_mul_lo_u32 v12, v2, v8
	v_mul_hi_u32 v13, v2, v8
	v_mul_hi_u32 v14, v7, v10
	v_mul_lo_u32 v10, v7, v10
	v_mul_hi_u32 v15, v7, v8
	v_mul_lo_u32 v8, v7, v8
	v_add_co_u32 v11, vcc_lo, v11, v12
	v_add_co_ci_u32_e32 v12, vcc_lo, 0, v13, vcc_lo
	s_delay_alu instid0(VALU_DEP_2) | instskip(NEXT) | instid1(VALU_DEP_2)
	v_add_co_u32 v10, vcc_lo, v11, v10
	v_add_co_ci_u32_e32 v10, vcc_lo, v12, v14, vcc_lo
	v_add_co_ci_u32_e32 v11, vcc_lo, 0, v15, vcc_lo
	s_delay_alu instid0(VALU_DEP_2) | instskip(NEXT) | instid1(VALU_DEP_2)
	v_add_co_u32 v8, vcc_lo, v10, v8
	v_add_co_ci_u32_e32 v10, vcc_lo, 0, v11, vcc_lo
	s_delay_alu instid0(VALU_DEP_2) | instskip(NEXT) | instid1(VALU_DEP_2)
	v_add_co_u32 v2, vcc_lo, v2, v8
	v_add_co_ci_u32_e32 v14, vcc_lo, v7, v10, vcc_lo
	s_delay_alu instid0(VALU_DEP_2) | instskip(SKIP_1) | instid1(VALU_DEP_3)
	v_mul_hi_u32 v15, v5, v2
	v_mad_u64_u32 v[10:11], null, v6, v2, 0
	v_mad_u64_u32 v[7:8], null, v5, v14, 0
	;; [unrolled: 1-line block ×3, first 2 shown]
	s_delay_alu instid0(VALU_DEP_2) | instskip(NEXT) | instid1(VALU_DEP_3)
	v_add_co_u32 v2, vcc_lo, v15, v7
	v_add_co_ci_u32_e32 v7, vcc_lo, 0, v8, vcc_lo
	s_delay_alu instid0(VALU_DEP_2) | instskip(NEXT) | instid1(VALU_DEP_2)
	v_add_co_u32 v2, vcc_lo, v2, v10
	v_add_co_ci_u32_e32 v2, vcc_lo, v7, v11, vcc_lo
	v_add_co_ci_u32_e32 v7, vcc_lo, 0, v13, vcc_lo
	s_delay_alu instid0(VALU_DEP_2) | instskip(NEXT) | instid1(VALU_DEP_2)
	v_add_co_u32 v2, vcc_lo, v2, v12
	v_add_co_ci_u32_e32 v10, vcc_lo, 0, v7, vcc_lo
	s_delay_alu instid0(VALU_DEP_2) | instskip(SKIP_1) | instid1(VALU_DEP_3)
	v_mul_lo_u32 v11, s19, v2
	v_mad_u64_u32 v[7:8], null, s18, v2, 0
	v_mul_lo_u32 v12, s18, v10
	s_delay_alu instid0(VALU_DEP_2) | instskip(NEXT) | instid1(VALU_DEP_2)
	v_sub_co_u32 v7, vcc_lo, v5, v7
	v_add3_u32 v8, v8, v12, v11
	s_delay_alu instid0(VALU_DEP_1) | instskip(NEXT) | instid1(VALU_DEP_1)
	v_sub_nc_u32_e32 v11, v6, v8
	v_subrev_co_ci_u32_e64 v11, s2, s19, v11, vcc_lo
	v_add_co_u32 v12, s2, v2, 2
	s_delay_alu instid0(VALU_DEP_1) | instskip(SKIP_3) | instid1(VALU_DEP_3)
	v_add_co_ci_u32_e64 v13, s2, 0, v10, s2
	v_sub_co_u32 v14, s2, v7, s18
	v_sub_co_ci_u32_e32 v8, vcc_lo, v6, v8, vcc_lo
	v_subrev_co_ci_u32_e64 v11, s2, 0, v11, s2
	v_cmp_le_u32_e32 vcc_lo, s18, v14
	s_delay_alu instid0(VALU_DEP_3) | instskip(SKIP_1) | instid1(VALU_DEP_4)
	v_cmp_eq_u32_e64 s2, s19, v8
	v_cndmask_b32_e64 v14, 0, -1, vcc_lo
	v_cmp_le_u32_e32 vcc_lo, s19, v11
	v_cndmask_b32_e64 v15, 0, -1, vcc_lo
	v_cmp_le_u32_e32 vcc_lo, s18, v7
	;; [unrolled: 2-line block ×3, first 2 shown]
	v_cndmask_b32_e64 v16, 0, -1, vcc_lo
	v_cmp_eq_u32_e32 vcc_lo, s19, v11
	s_delay_alu instid0(VALU_DEP_2) | instskip(SKIP_3) | instid1(VALU_DEP_3)
	v_cndmask_b32_e64 v7, v16, v7, s2
	v_cndmask_b32_e32 v11, v15, v14, vcc_lo
	v_add_co_u32 v14, vcc_lo, v2, 1
	v_add_co_ci_u32_e32 v15, vcc_lo, 0, v10, vcc_lo
	v_cmp_ne_u32_e32 vcc_lo, 0, v11
	s_delay_alu instid0(VALU_DEP_2) | instskip(SKIP_1) | instid1(VALU_DEP_2)
	v_dual_cndmask_b32 v8, v15, v13 :: v_dual_cndmask_b32 v11, v14, v12
	v_cmp_ne_u32_e32 vcc_lo, 0, v7
	v_cndmask_b32_e32 v7, v2, v11, vcc_lo
	s_delay_alu instid0(VALU_DEP_3)
	v_cndmask_b32_e32 v8, v10, v8, vcc_lo
.LBB0_4:                                ;   in Loop: Header=BB0_2 Depth=1
	s_and_not1_saveexec_b32 s2, s3
	s_cbranch_execz .LBB0_6
; %bb.5:                                ;   in Loop: Header=BB0_2 Depth=1
	v_cvt_f32_u32_e32 v2, s18
	s_sub_i32 s3, 0, s18
	s_delay_alu instid0(VALU_DEP_1) | instskip(SKIP_2) | instid1(VALU_DEP_1)
	v_rcp_iflag_f32_e32 v2, v2
	s_waitcnt_depctr 0xfff
	v_mul_f32_e32 v2, 0x4f7ffffe, v2
	v_cvt_u32_f32_e32 v2, v2
	s_delay_alu instid0(VALU_DEP_1) | instskip(NEXT) | instid1(VALU_DEP_1)
	v_mul_lo_u32 v7, s3, v2
	v_mul_hi_u32 v7, v2, v7
	s_delay_alu instid0(VALU_DEP_1) | instskip(NEXT) | instid1(VALU_DEP_1)
	v_add_nc_u32_e32 v2, v2, v7
	v_mul_hi_u32 v2, v5, v2
	s_delay_alu instid0(VALU_DEP_1) | instskip(SKIP_1) | instid1(VALU_DEP_2)
	v_mul_lo_u32 v7, v2, s18
	v_add_nc_u32_e32 v8, 1, v2
	v_sub_nc_u32_e32 v7, v5, v7
	s_delay_alu instid0(VALU_DEP_1) | instskip(SKIP_1) | instid1(VALU_DEP_2)
	v_subrev_nc_u32_e32 v10, s18, v7
	v_cmp_le_u32_e32 vcc_lo, s18, v7
	v_dual_cndmask_b32 v7, v7, v10 :: v_dual_cndmask_b32 v2, v2, v8
	s_delay_alu instid0(VALU_DEP_1) | instskip(NEXT) | instid1(VALU_DEP_2)
	v_cmp_le_u32_e32 vcc_lo, s18, v7
	v_add_nc_u32_e32 v8, 1, v2
	s_delay_alu instid0(VALU_DEP_1)
	v_dual_cndmask_b32 v7, v2, v8 :: v_dual_mov_b32 v8, v1
.LBB0_6:                                ;   in Loop: Header=BB0_2 Depth=1
	s_or_b32 exec_lo, exec_lo, s2
	s_load_b64 s[2:3], s[12:13], 0x0
	s_delay_alu instid0(VALU_DEP_1) | instskip(NEXT) | instid1(VALU_DEP_2)
	v_mul_lo_u32 v2, v8, s18
	v_mul_lo_u32 v12, v7, s19
	v_mad_u64_u32 v[10:11], null, v7, s18, 0
	s_add_u32 s16, s16, 1
	s_addc_u32 s17, s17, 0
	s_add_u32 s12, s12, 8
	s_addc_u32 s13, s13, 0
	;; [unrolled: 2-line block ×3, first 2 shown]
	s_delay_alu instid0(VALU_DEP_1) | instskip(SKIP_1) | instid1(VALU_DEP_2)
	v_add3_u32 v2, v11, v12, v2
	v_sub_co_u32 v10, vcc_lo, v5, v10
	v_sub_co_ci_u32_e32 v2, vcc_lo, v6, v2, vcc_lo
	s_waitcnt lgkmcnt(0)
	s_delay_alu instid0(VALU_DEP_2) | instskip(NEXT) | instid1(VALU_DEP_2)
	v_mul_lo_u32 v11, s3, v10
	v_mul_lo_u32 v2, s2, v2
	v_mad_u64_u32 v[5:6], null, s2, v10, v[3:4]
	v_cmp_ge_u64_e64 s2, s[16:17], s[6:7]
	s_delay_alu instid0(VALU_DEP_1) | instskip(NEXT) | instid1(VALU_DEP_2)
	s_and_b32 vcc_lo, exec_lo, s2
	v_add3_u32 v4, v11, v6, v2
	s_delay_alu instid0(VALU_DEP_3)
	v_mov_b32_e32 v3, v5
	s_cbranch_vccnz .LBB0_9
; %bb.7:                                ;   in Loop: Header=BB0_2 Depth=1
	v_dual_mov_b32 v5, v7 :: v_dual_mov_b32 v6, v8
	s_branch .LBB0_2
.LBB0_8:
	v_dual_mov_b32 v8, v6 :: v_dual_mov_b32 v7, v5
.LBB0_9:
	s_lshl_b64 s[2:3], s[6:7], 3
	v_mul_hi_u32 v1, 0x3483484, v0
	s_add_u32 s2, s10, s2
	s_addc_u32 s3, s11, s3
	v_and_b32_e32 v5, 1, v9
	s_load_b64 s[2:3], s[2:3], 0x0
	s_load_b64 s[6:7], s[0:1], 0x20
	s_delay_alu instid0(VALU_DEP_1) | instskip(NEXT) | instid1(VALU_DEP_3)
	v_cmp_eq_u32_e64 s0, 1, v5
	v_mul_u32_u24_e32 v6, 0x4e, v1
	s_delay_alu instid0(VALU_DEP_1) | instskip(NEXT) | instid1(VALU_DEP_1)
	v_sub_nc_u32_e32 v72, v0, v6
	v_add_nc_u32_e32 v77, 0x4e, v72
	v_add_nc_u32_e32 v76, 0x9c, v72
	s_waitcnt lgkmcnt(0)
	v_mul_lo_u32 v9, s2, v8
	v_mul_lo_u32 v10, s3, v7
	v_mad_u64_u32 v[1:2], null, s2, v7, v[3:4]
	v_cmp_gt_u64_e32 vcc_lo, s[6:7], v[7:8]
	v_cmp_le_u64_e64 s1, s[6:7], v[7:8]
	s_delay_alu instid0(VALU_DEP_3) | instskip(NEXT) | instid1(VALU_DEP_2)
	v_add3_u32 v2, v10, v2, v9
	s_and_saveexec_b32 s2, s1
	s_delay_alu instid0(SALU_CYCLE_1)
	s_xor_b32 s1, exec_lo, s2
; %bb.10:
	v_add_nc_u32_e32 v77, 0x4e, v72
	v_add_nc_u32_e32 v76, 0x9c, v72
; %bb.11:
	s_or_saveexec_b32 s1, s1
	v_cndmask_b32_e64 v0, 0, 0x3f7, s0
	v_lshlrev_b64 v[74:75], 4, v[1:2]
	v_lshlrev_b32_e32 v102, 4, v72
	s_delay_alu instid0(VALU_DEP_3)
	v_lshlrev_b32_e32 v78, 4, v0
	s_xor_b32 exec_lo, exec_lo, s1
	s_cbranch_execz .LBB0_13
; %bb.12:
	v_mov_b32_e32 v73, 0
	v_add_co_u32 v2, s0, s8, v74
	s_delay_alu instid0(VALU_DEP_1) | instskip(NEXT) | instid1(VALU_DEP_3)
	v_add_co_ci_u32_e64 v3, s0, s9, v75, s0
	v_lshlrev_b64 v[0:1], 4, v[72:73]
	v_add3_u32 v52, 0, v78, v102
	s_delay_alu instid0(VALU_DEP_2) | instskip(NEXT) | instid1(VALU_DEP_1)
	v_add_co_u32 v24, s0, v2, v0
	v_add_co_ci_u32_e64 v25, s0, v3, v1, s0
	s_delay_alu instid0(VALU_DEP_2) | instskip(NEXT) | instid1(VALU_DEP_1)
	v_add_co_u32 v26, s0, 0x1000, v24
	v_add_co_ci_u32_e64 v27, s0, 0, v25, s0
	v_add_co_u32 v36, s0, 0x2000, v24
	s_delay_alu instid0(VALU_DEP_1) | instskip(SKIP_1) | instid1(VALU_DEP_1)
	v_add_co_ci_u32_e64 v37, s0, 0, v25, s0
	v_add_co_u32 v48, s0, 0x3000, v24
	v_add_co_ci_u32_e64 v49, s0, 0, v25, s0
	s_clause 0xc
	global_load_b128 v[0:3], v[24:25], off
	global_load_b128 v[4:7], v[24:25], off offset:1248
	global_load_b128 v[8:11], v[24:25], off offset:2496
	global_load_b128 v[12:15], v[24:25], off offset:3744
	global_load_b128 v[16:19], v[26:27], off offset:896
	global_load_b128 v[20:23], v[26:27], off offset:2144
	global_load_b128 v[24:27], v[26:27], off offset:3392
	global_load_b128 v[28:31], v[36:37], off offset:544
	global_load_b128 v[32:35], v[36:37], off offset:1792
	global_load_b128 v[36:39], v[36:37], off offset:3040
	global_load_b128 v[40:43], v[48:49], off offset:192
	global_load_b128 v[44:47], v[48:49], off offset:1440
	global_load_b128 v[48:51], v[48:49], off offset:2688
	s_waitcnt vmcnt(12)
	ds_store_b128 v52, v[0:3]
	s_waitcnt vmcnt(11)
	ds_store_b128 v52, v[4:7] offset:1248
	s_waitcnt vmcnt(10)
	ds_store_b128 v52, v[8:11] offset:2496
	;; [unrolled: 2-line block ×12, first 2 shown]
.LBB0_13:
	s_or_b32 exec_lo, exec_lo, s1
	s_delay_alu instid0(VALU_DEP_1)
	v_add_nc_u32_e32 v101, 0, v78
	v_add3_u32 v73, 0, v102, v78
	s_waitcnt lgkmcnt(0)
	s_barrier
	buffer_gl0_inv
	v_add_nc_u32_e32 v100, v101, v102
	s_mov_b32 s10, 0x42a4c3d2
	s_mov_b32 s2, 0x1ea71119
	;; [unrolled: 1-line block ×4, first 2 shown]
	ds_load_b128 v[8:11], v100
	ds_load_b128 v[28:31], v73 offset:1248
	ds_load_b128 v[40:43], v73 offset:2496
	;; [unrolled: 1-line block ×4, first 2 shown]
	s_mov_b32 s20, 0x66966769
	s_mov_b32 s6, 0xebaa3ed8
	;; [unrolled: 1-line block ×17, first 2 shown]
	s_waitcnt lgkmcnt(3)
	v_add_f64 v[2:3], v[10:11], v[30:31]
	v_add_f64 v[0:1], v[8:9], v[28:29]
	s_mov_b32 s1, 0x3fec55a7
	s_mov_b32 s23, 0xbfcea1e5
	;; [unrolled: 1-line block ×15, first 2 shown]
	s_waitcnt lgkmcnt(2)
	s_delay_alu instid0(VALU_DEP_2) | instskip(NEXT) | instid1(VALU_DEP_2)
	v_add_f64 v[2:3], v[2:3], v[42:43]
	v_add_f64 v[0:1], v[0:1], v[40:41]
	s_waitcnt lgkmcnt(1)
	s_delay_alu instid0(VALU_DEP_2) | instskip(NEXT) | instid1(VALU_DEP_2)
	v_add_f64 v[22:23], v[2:3], v[38:39]
	v_add_f64 v[20:21], v[0:1], v[36:37]
	ds_load_b128 v[52:55], v73 offset:6240
	ds_load_b128 v[4:7], v73 offset:12480
	;; [unrolled: 1-line block ×7, first 2 shown]
	s_waitcnt lgkmcnt(5)
	v_add_f64 v[62:63], v[38:39], -v[6:7]
	s_waitcnt lgkmcnt(4)
	v_add_f64 v[58:59], v[42:43], -v[2:3]
	;; [unrolled: 2-line block ×3, first 2 shown]
	v_add_f64 v[79:80], v[54:55], v[18:19]
	s_waitcnt lgkmcnt(0)
	v_add_f64 v[81:82], v[34:35], -v[26:27]
	v_add_f64 v[50:51], v[34:35], v[26:27]
	v_add_f64 v[60:61], v[42:43], v[2:3]
	;; [unrolled: 1-line block ×4, first 2 shown]
	v_add_f64 v[89:90], v[36:37], -v[4:5]
	v_add_f64 v[38:39], v[32:33], v[24:25]
	v_add_f64 v[36:37], v[32:33], -v[24:25]
	v_add_f64 v[85:86], v[40:41], -v[0:1]
	;; [unrolled: 1-line block ×3, first 2 shown]
	v_add_f64 v[68:69], v[46:47], v[14:15]
	v_add_f64 v[42:43], v[52:53], v[16:17]
	;; [unrolled: 1-line block ×4, first 2 shown]
	ds_load_b128 v[20:23], v73 offset:14976
	v_add_f64 v[46:47], v[44:45], v[12:13]
	v_add_f64 v[44:45], v[44:45], -v[12:13]
	s_waitcnt lgkmcnt(0)
	s_barrier
	buffer_gl0_inv
	v_mul_f64 v[107:108], v[62:63], s[22:23]
	v_mul_f64 v[103:104], v[58:59], s[12:13]
	;; [unrolled: 1-line block ×3, first 2 shown]
	v_add_f64 v[91:92], v[30:31], -v[22:23]
	v_add_f64 v[93:94], v[30:31], v[22:23]
	v_add_f64 v[95:96], v[28:29], v[20:21]
	v_add_f64 v[97:98], v[28:29], -v[20:21]
	v_mul_f64 v[105:106], v[60:61], s[14:15]
	v_mul_f64 v[119:120], v[60:61], s[26:27]
	;; [unrolled: 1-line block ×12, first 2 shown]
	v_add_f64 v[54:55], v[56:57], v[54:55]
	v_add_f64 v[83:84], v[48:49], v[52:53]
	;; [unrolled: 1-line block ×3, first 2 shown]
	v_mul_f64 v[161:162], v[64:65], s[2:3]
	v_mul_f64 v[195:196], v[62:63], s[16:17]
	;; [unrolled: 1-line block ×3, first 2 shown]
	v_add_f64 v[40:41], v[52:53], -v[16:17]
	v_mul_f64 v[111:112], v[66:67], s[38:39]
	v_mul_f64 v[113:114], v[68:69], s[24:25]
	;; [unrolled: 1-line block ×12, first 2 shown]
	v_fma_f64 v[205:206], v[87:88], s[26:27], v[107:108]
	v_fma_f64 v[107:108], v[87:88], s[26:27], -v[107:108]
	v_mul_f64 v[115:116], v[70:71], s[30:31]
	v_mul_f64 v[163:164], v[91:92], s[10:11]
	;; [unrolled: 1-line block ×13, first 2 shown]
	v_fma_f64 v[203:204], v[85:86], s[40:41], v[105:106]
	v_fma_f64 v[235:236], v[85:86], s[16:17], v[137:138]
	;; [unrolled: 1-line block ×4, first 2 shown]
	v_add_f64 v[34:35], v[54:55], v[34:35]
	v_add_f64 v[32:33], v[83:84], v[32:33]
	v_mul_f64 v[54:55], v[62:63], s[28:29]
	v_mul_f64 v[83:84], v[64:65], s[0:1]
	v_fma_f64 v[209:210], v[56:57], s[26:27], v[117:118]
	v_fma_f64 v[241:242], v[56:57], s[6:7], v[151:152]
	;; [unrolled: 1-line block ×3, first 2 shown]
	v_fma_f64 v[117:118], v[56:57], s[26:27], -v[117:118]
	v_fma_f64 v[151:152], v[56:57], s[6:7], -v[151:152]
	v_fma_f64 v[137:138], v[85:86], s[38:39], v[137:138]
	v_fma_f64 v[153:154], v[85:86], s[30:31], v[153:154]
	;; [unrolled: 1-line block ×5, first 2 shown]
	v_fma_f64 v[159:160], v[87:88], s[2:3], -v[159:160]
	v_fma_f64 v[109:110], v[89:90], s[22:23], v[109:110]
	v_fma_f64 v[161:162], v[89:90], s[10:11], v[161:162]
	v_mul_f64 v[48:49], v[79:80], s[6:7]
	v_mul_f64 v[129:130], v[70:71], s[10:11]
	;; [unrolled: 1-line block ×5, first 2 shown]
	v_fma_f64 v[215:216], v[95:96], s[2:3], v[163:164]
	v_fma_f64 v[217:218], v[97:98], s[34:35], v[165:166]
	v_fma_f64 v[219:220], v[95:96], s[6:7], v[171:172]
	v_fma_f64 v[221:222], v[97:98], s[30:31], v[173:174]
	v_fma_f64 v[223:224], v[95:96], s[14:15], v[179:180]
	v_fma_f64 v[225:226], v[97:98], s[40:41], v[181:182]
	v_fma_f64 v[227:228], v[95:96], s[24:25], v[187:188]
	v_fma_f64 v[229:230], v[97:98], s[38:39], v[189:190]
	v_fma_f64 v[211:212], v[95:96], s[0:1], v[155:156]
	v_fma_f64 v[155:156], v[95:96], s[0:1], -v[155:156]
	v_fma_f64 v[163:164], v[95:96], s[2:3], -v[163:164]
	;; [unrolled: 1-line block ×5, first 2 shown]
	v_fma_f64 v[231:232], v[95:96], s[26:27], v[91:92]
	v_fma_f64 v[233:234], v[97:98], s[36:37], v[93:94]
	v_add_f64 v[26:27], v[34:35], v[26:27]
	v_add_f64 v[24:25], v[32:33], v[24:25]
	v_fma_f64 v[91:92], v[95:96], s[26:27], -v[91:92]
	v_mul_f64 v[34:35], v[58:59], s[10:11]
	v_mul_f64 v[58:59], v[60:61], s[2:3]
	v_fma_f64 v[213:214], v[97:98], s[28:29], v[157:158]
	v_fma_f64 v[157:158], v[97:98], s[18:19], v[157:158]
	;; [unrolled: 1-line block ×7, first 2 shown]
	v_mul_f64 v[60:61], v[62:63], s[20:21]
	v_mul_f64 v[62:63], v[64:65], s[6:7]
	v_fma_f64 v[64:65], v[56:57], s[14:15], v[103:104]
	v_fma_f64 v[95:96], v[85:86], s[36:37], v[119:120]
	v_fma_f64 v[103:104], v[56:57], s[14:15], -v[103:104]
	v_fma_f64 v[119:120], v[85:86], s[22:23], v[119:120]
	v_fma_f64 v[97:98], v[87:88], s[14:15], v[121:122]
	;; [unrolled: 1-line block ×4, first 2 shown]
	v_fma_f64 v[121:122], v[87:88], s[14:15], -v[121:122]
	v_add_f64 v[215:216], v[8:9], v[215:216]
	v_add_f64 v[217:218], v[10:11], v[217:218]
	;; [unrolled: 1-line block ×17, first 2 shown]
	v_fma_f64 v[26:27], v[56:57], s[24:25], v[135:136]
	v_add_f64 v[16:17], v[24:25], v[16:17]
	v_add_f64 v[8:9], v[8:9], v[91:92]
	v_fma_f64 v[91:92], v[85:86], s[18:19], v[193:194]
	v_add_f64 v[213:214], v[10:11], v[213:214]
	v_add_f64 v[157:158], v[10:11], v[157:158]
	;; [unrolled: 1-line block ×7, first 2 shown]
	v_fma_f64 v[135:136], v[56:57], s[24:25], -v[135:136]
	v_fma_f64 v[24:25], v[89:90], s[12:13], v[123:124]
	v_fma_f64 v[93:94], v[87:88], s[24:25], v[195:196]
	v_fma_f64 v[54:55], v[87:88], s[0:1], -v[54:55]
	v_fma_f64 v[123:124], v[89:90], s[40:41], v[123:124]
	v_fma_f64 v[83:84], v[89:90], s[28:29], v[83:84]
	v_mul_f64 v[175:176], v[70:71], s[28:29]
	v_mul_f64 v[177:178], v[79:80], s[0:1]
	;; [unrolled: 1-line block ×4, first 2 shown]
	v_add_f64 v[64:65], v[64:65], v[215:216]
	v_add_f64 v[203:204], v[203:204], v[217:218]
	;; [unrolled: 1-line block ×4, first 2 shown]
	v_fma_f64 v[219:220], v[46:47], s[24:25], v[111:112]
	v_add_f64 v[225:226], v[235:236], v[225:226]
	v_add_f64 v[227:228], v[241:242], v[227:228]
	;; [unrolled: 1-line block ×3, first 2 shown]
	v_fma_f64 v[221:222], v[44:45], s[16:17], v[113:114]
	v_fma_f64 v[111:112], v[46:47], s[24:25], -v[111:112]
	v_add_f64 v[103:104], v[103:104], v[163:164]
	v_add_f64 v[117:118], v[117:118], v[171:172]
	v_fma_f64 v[163:164], v[46:47], s[6:7], v[139:140]
	v_add_f64 v[151:152], v[151:152], v[187:188]
	v_add_f64 v[231:232], v[249:250], v[231:232]
	v_fma_f64 v[249:250], v[46:47], s[0:1], v[125:126]
	v_add_f64 v[14:15], v[18:19], v[14:15]
	v_fma_f64 v[18:19], v[56:57], s[2:3], v[34:35]
	v_fma_f64 v[34:35], v[56:57], s[2:3], -v[34:35]
	v_fma_f64 v[56:57], v[56:57], s[0:1], -v[191:192]
	v_fma_f64 v[191:192], v[85:86], s[34:35], v[58:59]
	v_fma_f64 v[58:59], v[85:86], s[10:11], v[58:59]
	;; [unrolled: 1-line block ×3, first 2 shown]
	v_add_f64 v[26:27], v[26:27], v[223:224]
	v_add_f64 v[12:13], v[16:17], v[12:13]
	v_fma_f64 v[16:17], v[89:90], s[38:39], v[197:198]
	v_add_f64 v[91:92], v[91:92], v[233:234]
	v_fma_f64 v[193:194], v[87:88], s[6:7], v[60:61]
	v_fma_f64 v[60:61], v[87:88], s[6:7], -v[60:61]
	v_fma_f64 v[87:88], v[87:88], s[24:25], -v[195:196]
	v_fma_f64 v[195:196], v[89:90], s[30:31], v[62:63]
	v_fma_f64 v[62:63], v[89:90], s[20:21], v[62:63]
	;; [unrolled: 1-line block ×3, first 2 shown]
	v_add_f64 v[135:136], v[135:136], v[179:180]
	v_add_f64 v[153:154], v[153:154], v[189:190]
	;; [unrolled: 1-line block ×7, first 2 shown]
	v_fma_f64 v[233:234], v[44:45], s[18:19], v[127:128]
	v_add_f64 v[97:98], v[97:98], v[209:210]
	v_add_f64 v[24:25], v[24:25], v[95:96]
	v_fma_f64 v[165:166], v[44:45], s[30:31], v[141:142]
	v_add_f64 v[225:226], v[239:240], v[225:226]
	v_fma_f64 v[187:188], v[46:47], s[26:27], v[167:168]
	v_fma_f64 v[189:190], v[44:45], s[22:23], v[169:170]
	v_add_f64 v[227:228], v[245:246], v[227:228]
	v_add_f64 v[229:230], v[247:248], v[229:230]
	v_mul_f64 v[197:198], v[79:80], s[14:15]
	v_fma_f64 v[209:210], v[46:47], s[2:3], v[199:200]
	v_fma_f64 v[95:96], v[44:45], s[10:11], v[201:202]
	v_add_f64 v[93:94], v[93:94], v[231:232]
	v_mul_f64 v[79:80], v[79:80], s[24:25]
	v_fma_f64 v[231:232], v[46:47], s[14:15], v[66:67]
	v_add_f64 v[18:19], v[18:19], v[211:212]
	v_add_f64 v[34:35], v[34:35], v[155:156]
	;; [unrolled: 1-line block ×7, first 2 shown]
	v_fma_f64 v[66:67], v[46:47], s[14:15], -v[66:67]
	v_fma_f64 v[125:126], v[46:47], s[0:1], -v[125:126]
	v_add_f64 v[16:17], v[16:17], v[91:92]
	v_fma_f64 v[91:92], v[46:47], s[6:7], -v[139:140]
	v_fma_f64 v[139:140], v[46:47], s[26:27], -v[167:168]
	;; [unrolled: 1-line block ×3, first 2 shown]
	v_fma_f64 v[167:168], v[44:45], s[40:41], v[68:69]
	v_fma_f64 v[68:69], v[44:45], s[12:13], v[68:69]
	;; [unrolled: 1-line block ×7, first 2 shown]
	v_add_f64 v[54:55], v[54:55], v[135:136]
	v_add_f64 v[83:84], v[83:84], v[137:138]
	;; [unrolled: 1-line block ×3, first 2 shown]
	v_mul_f64 v[30:31], v[81:82], s[28:29]
	v_mul_f64 v[28:29], v[50:51], s[0:1]
	v_fma_f64 v[223:224], v[42:43], s[6:7], v[115:116]
	v_fma_f64 v[235:236], v[40:41], s[20:21], v[48:49]
	v_add_f64 v[64:65], v[219:220], v[64:65]
	v_add_f64 v[109:110], v[221:222], v[203:204]
	v_mul_f64 v[133:134], v[81:82], s[16:17]
	v_mul_f64 v[52:53], v[50:51], s[24:25]
	v_fma_f64 v[211:212], v[42:43], s[2:3], v[129:130]
	v_fma_f64 v[213:214], v[40:41], s[34:35], v[131:132]
	v_add_f64 v[97:98], v[249:250], v[97:98]
	v_add_f64 v[24:25], v[233:234], v[24:25]
	v_mul_f64 v[147:148], v[81:82], s[34:35]
	v_mul_f64 v[149:150], v[50:51], s[2:3]
	v_fma_f64 v[171:172], v[42:43], s[26:27], v[143:144]
	v_add_f64 v[18:19], v[193:194], v[18:19]
	v_add_f64 v[34:35], v[60:61], v[34:35]
	;; [unrolled: 1-line block ×11, first 2 shown]
	v_fma_f64 v[173:174], v[40:41], s[22:23], v[145:146]
	v_add_f64 v[26:27], v[163:164], v[26:27]
	v_add_f64 v[117:118], v[165:166], v[225:226]
	v_mul_f64 v[183:184], v[81:82], s[12:13]
	v_mul_f64 v[185:186], v[50:51], s[14:15]
	v_fma_f64 v[56:57], v[42:43], s[0:1], v[175:176]
	v_fma_f64 v[85:86], v[40:41], s[18:19], v[177:178]
	v_add_f64 v[119:120], v[187:188], v[227:228]
	v_add_f64 v[121:122], v[189:190], v[229:230]
	v_mul_f64 v[215:216], v[81:82], s[30:31]
	v_mul_f64 v[217:218], v[50:51], s[6:7]
	v_fma_f64 v[237:238], v[42:43], s[14:15], v[32:33]
	;; [unrolled: 6-line block ×3, first 2 shown]
	v_fma_f64 v[70:71], v[42:43], s[24:25], -v[70:71]
	v_fma_f64 v[115:116], v[42:43], s[6:7], -v[115:116]
	;; [unrolled: 1-line block ×3, first 2 shown]
	v_add_f64 v[4:5], v[12:13], v[4:5]
	v_add_f64 v[6:7], v[14:15], v[6:7]
	v_fma_f64 v[12:13], v[42:43], s[26:27], -v[143:144]
	v_fma_f64 v[14:15], v[42:43], s[0:1], -v[175:176]
	;; [unrolled: 1-line block ×3, first 2 shown]
	v_fma_f64 v[42:43], v[40:41], s[38:39], v[79:80]
	v_fma_f64 v[79:80], v[40:41], s[16:17], v[79:80]
	;; [unrolled: 1-line block ×7, first 2 shown]
	v_add_f64 v[34:35], v[66:67], v[34:35]
	v_add_f64 v[66:67], v[125:126], v[103:104]
	;; [unrolled: 1-line block ×14, first 2 shown]
	v_fma_f64 v[241:242], v[38:39], s[0:1], v[30:31]
	v_fma_f64 v[243:244], v[36:37], s[18:19], v[28:29]
	v_add_f64 v[64:65], v[223:224], v[64:65]
	v_add_f64 v[68:69], v[235:236], v[109:110]
	v_fma_f64 v[155:156], v[38:39], s[24:25], v[133:134]
	v_fma_f64 v[157:158], v[36:37], s[38:39], v[52:53]
	v_add_f64 v[89:90], v[211:212], v[97:98]
	v_add_f64 v[24:25], v[213:214], v[24:25]
	;; [unrolled: 4-line block ×5, first 2 shown]
	v_fma_f64 v[135:136], v[38:39], s[26:27], v[81:82]
	v_fma_f64 v[81:82], v[38:39], s[26:27], -v[81:82]
	v_fma_f64 v[30:31], v[38:39], s[0:1], -v[30:31]
	;; [unrolled: 1-line block ×6, first 2 shown]
	v_fma_f64 v[111:112], v[36:37], s[36:37], v[50:51]
	v_fma_f64 v[50:51], v[36:37], s[22:23], v[50:51]
	;; [unrolled: 1-line block ×7, first 2 shown]
	v_add_f64 v[28:29], v[70:71], v[34:35]
	v_add_f64 v[36:37], v[129:130], v[66:67]
	;; [unrolled: 1-line block ×26, first 2 shown]
	v_lshl_add_u32 v103, v77, 4, v101
	v_cmp_gt_u32_e64 s0, 13, v72
	v_add_f64 v[32:33], v[105:106], v[36:37]
	v_add_f64 v[44:45], v[38:39], v[66:67]
	;; [unrolled: 1-line block ×16, first 2 shown]
	v_mad_u32_u24 v52, 0xc0, v72, v73
	ds_store_b128 v52, v[4:7] offset:32
	ds_store_b128 v52, v[8:11] offset:48
	ds_store_b128 v52, v[12:15] offset:64
	ds_store_b128 v52, v[16:19] offset:80
	ds_store_b128 v52, v[24:27] offset:96
	ds_store_b128 v52, v[44:47] offset:112
	ds_store_b128 v52, v[40:43] offset:128
	ds_store_b128 v52, v[36:39] offset:144
	ds_store_b128 v52, v[32:35] offset:160
	ds_store_b128 v52, v[28:31] offset:176
	ds_store_b128 v52, v[0:3] offset:192
	ds_store_b128 v52, v[20:23]
	ds_store_b128 v52, v[48:51] offset:16
	s_waitcnt lgkmcnt(0)
	s_barrier
	buffer_gl0_inv
	ds_load_b128 v[24:27], v100
	ds_load_b128 v[36:39], v73 offset:2704
	ds_load_b128 v[48:51], v73 offset:5408
	;; [unrolled: 1-line block ×9, first 2 shown]
	ds_load_b128 v[28:31], v103
	ds_load_b128 v[60:63], v73 offset:14768
	v_lshlrev_b32_e32 v79, 4, v76
                                        ; implicit-def: $vgpr22_vgpr23
                                        ; implicit-def: $vgpr18_vgpr19
                                        ; implicit-def: $vgpr14_vgpr15
                                        ; implicit-def: $vgpr10_vgpr11
                                        ; implicit-def: $vgpr6_vgpr7
	s_and_saveexec_b32 s1, s0
	s_cbranch_execz .LBB0_15
; %bb.14:
	s_delay_alu instid0(VALU_DEP_1)
	v_add3_u32 v0, 0, v79, v78
	ds_load_b128 v[4:7], v73 offset:5200
	ds_load_b128 v[8:11], v73 offset:7904
	;; [unrolled: 1-line block ×4, first 2 shown]
	ds_load_b128 v[0:3], v0
	ds_load_b128 v[20:23], v73 offset:16016
.LBB0_15:
	s_or_b32 exec_lo, exec_lo, s1
	v_and_b32_e32 v80, 0xff, v72
	v_and_b32_e32 v81, 0xff, v77
	s_mov_b32 s2, 0xe8584caa
	s_mov_b32 s3, 0xbfebb67a
	s_mov_b32 s7, 0x3febb67a
	v_mul_lo_u16 v80, 0x4f, v80
	s_mov_b32 s6, s2
	s_delay_alu instid0(VALU_DEP_1) | instskip(SKIP_1) | instid1(VALU_DEP_2)
	v_lshrrev_b16 v134, 10, v80
	v_mul_lo_u16 v80, 0x4f, v81
	v_mul_lo_u16 v81, v134, 13
	s_delay_alu instid0(VALU_DEP_2) | instskip(NEXT) | instid1(VALU_DEP_2)
	v_lshrrev_b16 v135, 10, v80
	v_sub_nc_u16 v80, v72, v81
	s_delay_alu instid0(VALU_DEP_2) | instskip(NEXT) | instid1(VALU_DEP_2)
	v_mul_lo_u16 v81, v135, 13
	v_and_b32_e32 v136, 0xff, v80
	s_delay_alu instid0(VALU_DEP_2) | instskip(NEXT) | instid1(VALU_DEP_2)
	v_sub_nc_u16 v80, v77, v81
	v_mul_u32_u24_e32 v81, 5, v136
	s_delay_alu instid0(VALU_DEP_2) | instskip(NEXT) | instid1(VALU_DEP_2)
	v_and_b32_e32 v137, 0xff, v80
	v_lshlrev_b32_e32 v112, 4, v81
	s_delay_alu instid0(VALU_DEP_2)
	v_mul_u32_u24_e32 v88, 5, v137
	s_clause 0x1
	global_load_b128 v[80:83], v112, s[4:5] offset:32
	global_load_b128 v[84:87], v112, s[4:5] offset:64
	v_lshlrev_b32_e32 v120, 4, v88
	s_clause 0x7
	global_load_b128 v[88:91], v120, s[4:5] offset:32
	global_load_b128 v[92:95], v120, s[4:5] offset:64
	global_load_b128 v[96:99], v112, s[4:5]
	global_load_b128 v[104:107], v120, s[4:5]
	global_load_b128 v[108:111], v112, s[4:5] offset:16
	global_load_b128 v[112:115], v112, s[4:5] offset:48
	;; [unrolled: 1-line block ×4, first 2 shown]
	s_waitcnt vmcnt(0) lgkmcnt(0)
	s_barrier
	buffer_gl0_inv
	v_mul_f64 v[128:129], v[56:57], v[90:91]
	v_mul_f64 v[124:125], v[64:65], v[82:83]
	;; [unrolled: 1-line block ×10, first 2 shown]
	v_fma_f64 v[58:59], v[58:59], v[88:89], -v[128:129]
	v_fma_f64 v[66:67], v[66:67], v[80:81], -v[124:125]
	v_fma_f64 v[70:71], v[70:71], v[84:85], -v[126:127]
	v_mul_f64 v[124:125], v[32:33], v[106:107]
	v_fma_f64 v[62:63], v[62:63], v[92:93], -v[130:131]
	v_mul_f64 v[126:127], v[50:51], v[110:111]
	v_mul_f64 v[110:111], v[48:49], v[110:111]
	;; [unrolled: 1-line block ×4, first 2 shown]
	v_fma_f64 v[64:65], v[64:65], v[80:81], v[82:83]
	v_fma_f64 v[68:69], v[68:69], v[84:85], v[86:87]
	v_fma_f64 v[38:39], v[38:39], v[96:97], -v[132:133]
	v_mul_f64 v[106:107], v[34:35], v[106:107]
	v_mul_f64 v[82:83], v[42:43], v[118:119]
	;; [unrolled: 1-line block ×5, first 2 shown]
	v_fma_f64 v[56:57], v[56:57], v[88:89], v[90:91]
	v_fma_f64 v[60:61], v[60:61], v[92:93], v[94:95]
	;; [unrolled: 1-line block ×3, first 2 shown]
	v_add_f64 v[80:81], v[66:67], v[70:71]
	v_fma_f64 v[34:35], v[34:35], v[104:105], -v[124:125]
	v_add_f64 v[88:89], v[58:59], v[62:63]
	v_fma_f64 v[48:49], v[48:49], v[108:109], v[126:127]
	v_fma_f64 v[50:51], v[50:51], v[108:109], -v[110:111]
	v_fma_f64 v[52:53], v[52:53], v[112:113], v[128:129]
	v_fma_f64 v[54:55], v[54:55], v[112:113], -v[114:115]
	v_add_f64 v[96:97], v[66:67], -v[70:71]
	v_add_f64 v[90:91], v[64:65], v[68:69]
	v_add_f64 v[92:93], v[64:65], -v[68:69]
	v_fma_f64 v[32:33], v[32:33], v[104:105], v[106:107]
	v_fma_f64 v[40:41], v[40:41], v[116:117], v[82:83]
	v_fma_f64 v[42:43], v[42:43], v[116:117], -v[84:85]
	v_fma_f64 v[44:45], v[44:45], v[120:121], v[86:87]
	v_fma_f64 v[46:47], v[46:47], v[120:121], -v[118:119]
	v_add_f64 v[106:107], v[58:59], -v[62:63]
	v_add_f64 v[82:83], v[56:57], v[60:61]
	v_add_f64 v[84:85], v[56:57], -v[60:61]
	v_fma_f64 v[80:81], v[80:81], -0.5, v[38:39]
	v_add_f64 v[38:39], v[38:39], v[66:67]
	v_fma_f64 v[86:87], v[88:89], -0.5, v[34:35]
	v_add_f64 v[34:35], v[34:35], v[58:59]
	v_add_f64 v[88:89], v[48:49], v[52:53]
	;; [unrolled: 1-line block ×3, first 2 shown]
	v_add_f64 v[110:111], v[50:51], -v[54:55]
	v_fma_f64 v[90:91], v[90:91], -0.5, v[36:37]
	v_add_f64 v[50:51], v[26:27], v[50:51]
	v_add_f64 v[36:37], v[36:37], v[64:65]
	;; [unrolled: 1-line block ×4, first 2 shown]
	v_add_f64 v[66:67], v[42:43], -v[46:47]
	v_fma_f64 v[82:83], v[82:83], -0.5, v[32:33]
	v_add_f64 v[42:43], v[30:31], v[42:43]
	v_add_f64 v[32:33], v[32:33], v[56:57]
	v_fma_f64 v[98:99], v[92:93], s[6:7], v[80:81]
	v_fma_f64 v[80:81], v[92:93], s[2:3], v[80:81]
	v_add_f64 v[92:93], v[40:41], v[44:45]
	v_fma_f64 v[108:109], v[84:85], s[6:7], v[86:87]
	v_fma_f64 v[84:85], v[84:85], s[2:3], v[86:87]
	v_add_f64 v[86:87], v[24:25], v[48:49]
	v_add_f64 v[48:49], v[48:49], -v[52:53]
	v_fma_f64 v[24:25], v[88:89], -0.5, v[24:25]
	v_fma_f64 v[26:27], v[94:95], -0.5, v[26:27]
	v_fma_f64 v[56:57], v[96:97], s[2:3], v[90:91]
	v_fma_f64 v[58:59], v[96:97], s[6:7], v[90:91]
	v_add_f64 v[40:41], v[40:41], -v[44:45]
	v_add_f64 v[50:51], v[50:51], v[54:55]
	v_add_f64 v[36:37], v[36:37], v[68:69]
	v_fma_f64 v[30:31], v[104:105], -0.5, v[30:31]
	v_add_f64 v[38:39], v[38:39], v[70:71]
	v_add_f64 v[44:45], v[64:65], v[44:45]
	;; [unrolled: 1-line block ×5, first 2 shown]
	v_mul_f64 v[88:89], v[98:99], s[2:3]
	v_mul_f64 v[94:95], v[98:99], 0.5
	v_mul_f64 v[90:91], v[80:81], s[2:3]
	v_mul_f64 v[80:81], v[80:81], -0.5
	v_fma_f64 v[28:29], v[92:93], -0.5, v[28:29]
	v_fma_f64 v[92:93], v[106:107], s[2:3], v[82:83]
	v_mul_f64 v[96:97], v[108:109], s[2:3]
	v_mul_f64 v[104:105], v[108:109], 0.5
	v_fma_f64 v[82:83], v[106:107], s[6:7], v[82:83]
	v_mul_f64 v[98:99], v[84:85], s[2:3]
	v_mul_f64 v[84:85], v[84:85], -0.5
	v_add_f64 v[52:53], v[86:87], v[52:53]
	v_fma_f64 v[60:61], v[110:111], s[2:3], v[24:25]
	v_fma_f64 v[64:65], v[48:49], s[6:7], v[26:27]
	;; [unrolled: 1-line block ×5, first 2 shown]
	v_add_f64 v[26:27], v[50:51], v[38:39]
	v_add_f64 v[32:33], v[44:45], v[46:47]
	;; [unrolled: 1-line block ×3, first 2 shown]
	v_fma_f64 v[48:49], v[56:57], 0.5, v[88:89]
	v_fma_f64 v[56:57], v[56:57], s[6:7], v[94:95]
	v_fma_f64 v[70:71], v[58:59], -0.5, v[90:91]
	v_fma_f64 v[58:59], v[58:59], s[6:7], v[80:81]
	v_fma_f64 v[80:81], v[66:67], s[2:3], v[28:29]
	;; [unrolled: 1-line block ×3, first 2 shown]
	v_fma_f64 v[90:91], v[92:93], 0.5, v[96:97]
	v_fma_f64 v[92:93], v[92:93], s[6:7], v[104:105]
	v_fma_f64 v[88:89], v[40:41], s[2:3], v[30:31]
	v_fma_f64 v[94:95], v[82:83], -0.5, v[98:99]
	v_fma_f64 v[82:83], v[82:83], s[6:7], v[84:85]
	v_add_f64 v[24:25], v[52:53], v[36:37]
	v_add_f64 v[30:31], v[50:51], -v[38:39]
	v_add_f64 v[38:39], v[42:43], -v[54:55]
	;; [unrolled: 1-line block ×4, first 2 shown]
	v_add_f64 v[40:41], v[60:61], v[48:49]
	v_add_f64 v[42:43], v[64:65], v[56:57]
	;; [unrolled: 1-line block ×4, first 2 shown]
	v_add_f64 v[48:49], v[60:61], -v[48:49]
	v_add_f64 v[50:51], v[64:65], -v[56:57]
	;; [unrolled: 1-line block ×4, first 2 shown]
	v_add_f64 v[56:57], v[80:81], v[90:91]
	v_add_f64 v[58:59], v[86:87], v[92:93]
	;; [unrolled: 1-line block ×4, first 2 shown]
	v_add_f64 v[64:65], v[80:81], -v[90:91]
	v_add_f64 v[68:69], v[66:67], -v[94:95]
	;; [unrolled: 1-line block ×4, first 2 shown]
	v_and_b32_e32 v80, 0xffff, v134
	v_and_b32_e32 v81, 0xffff, v135
	v_lshlrev_b32_e32 v82, 4, v136
	v_lshlrev_b32_e32 v83, 4, v137
	s_delay_alu instid0(VALU_DEP_4) | instskip(NEXT) | instid1(VALU_DEP_4)
	v_mad_u32_u24 v80, 0x4e0, v80, 0
	v_mad_u32_u24 v81, 0x4e0, v81, 0
	s_delay_alu instid0(VALU_DEP_2) | instskip(NEXT) | instid1(VALU_DEP_2)
	v_add3_u32 v80, v80, v82, v78
	v_add3_u32 v81, v81, v83, v78
	ds_store_b128 v80, v[24:27]
	ds_store_b128 v80, v[40:43] offset:208
	ds_store_b128 v80, v[44:47] offset:416
	;; [unrolled: 1-line block ×5, first 2 shown]
	ds_store_b128 v81, v[32:35]
	ds_store_b128 v81, v[56:59] offset:208
	ds_store_b128 v81, v[60:63] offset:416
	;; [unrolled: 1-line block ×5, first 2 shown]
	s_and_saveexec_b32 s1, s0
	s_cbranch_execz .LBB0_17
; %bb.16:
	v_and_b32_e32 v24, 0xff, v76
	s_delay_alu instid0(VALU_DEP_1) | instskip(NEXT) | instid1(VALU_DEP_1)
	v_mul_lo_u16 v24, 0x4f, v24
	v_lshrrev_b16 v24, 10, v24
	s_delay_alu instid0(VALU_DEP_1) | instskip(NEXT) | instid1(VALU_DEP_1)
	v_mul_lo_u16 v24, v24, 13
	v_sub_nc_u16 v24, v76, v24
	s_delay_alu instid0(VALU_DEP_1) | instskip(NEXT) | instid1(VALU_DEP_1)
	v_and_b32_e32 v50, 0xff, v24
	v_mul_u32_u24_e32 v24, 5, v50
	s_delay_alu instid0(VALU_DEP_1)
	v_lshlrev_b32_e32 v40, 4, v24
	s_clause 0x4
	global_load_b128 v[24:27], v40, s[4:5] offset:32
	global_load_b128 v[28:31], v40, s[4:5] offset:64
	global_load_b128 v[32:35], v40, s[4:5]
	global_load_b128 v[36:39], v40, s[4:5] offset:16
	global_load_b128 v[40:43], v40, s[4:5] offset:48
	s_waitcnt vmcnt(4)
	v_mul_f64 v[44:45], v[12:13], v[26:27]
	s_waitcnt vmcnt(3)
	v_mul_f64 v[46:47], v[20:21], v[30:31]
	v_mul_f64 v[26:27], v[14:15], v[26:27]
	;; [unrolled: 1-line block ×3, first 2 shown]
	s_waitcnt vmcnt(2)
	v_mul_f64 v[48:49], v[4:5], v[34:35]
	v_mul_f64 v[34:35], v[6:7], v[34:35]
	v_fma_f64 v[14:15], v[14:15], v[24:25], -v[44:45]
	v_fma_f64 v[22:23], v[22:23], v[28:29], -v[46:47]
	s_waitcnt vmcnt(1)
	v_mul_f64 v[44:45], v[8:9], v[38:39]
	s_waitcnt vmcnt(0)
	v_mul_f64 v[46:47], v[16:17], v[42:43]
	v_mul_f64 v[38:39], v[10:11], v[38:39]
	;; [unrolled: 1-line block ×3, first 2 shown]
	v_fma_f64 v[12:13], v[12:13], v[24:25], v[26:27]
	v_fma_f64 v[20:21], v[20:21], v[28:29], v[30:31]
	v_fma_f64 v[6:7], v[6:7], v[32:33], -v[48:49]
	v_fma_f64 v[4:5], v[4:5], v[32:33], v[34:35]
	v_add_f64 v[24:25], v[14:15], v[22:23]
	v_fma_f64 v[10:11], v[10:11], v[36:37], -v[44:45]
	v_fma_f64 v[18:19], v[18:19], v[40:41], -v[46:47]
	v_fma_f64 v[8:9], v[8:9], v[36:37], v[38:39]
	v_fma_f64 v[16:17], v[16:17], v[40:41], v[42:43]
	v_add_f64 v[32:33], v[14:15], -v[22:23]
	v_add_f64 v[26:27], v[12:13], v[20:21]
	v_add_f64 v[28:29], v[12:13], -v[20:21]
	v_fma_f64 v[24:25], v[24:25], -0.5, v[6:7]
	v_add_f64 v[38:39], v[2:3], v[10:11]
	v_add_f64 v[30:31], v[10:11], v[18:19]
	;; [unrolled: 1-line block ×4, first 2 shown]
	v_add_f64 v[10:11], v[10:11], -v[18:19]
	v_fma_f64 v[26:27], v[26:27], -0.5, v[4:5]
	v_add_f64 v[4:5], v[4:5], v[12:13]
	v_fma_f64 v[36:37], v[28:29], s[2:3], v[24:25]
	v_fma_f64 v[24:25], v[28:29], s[6:7], v[24:25]
	v_add_f64 v[28:29], v[8:9], -v[16:17]
	v_add_f64 v[8:9], v[0:1], v[8:9]
	v_fma_f64 v[2:3], v[30:31], -0.5, v[2:3]
	v_fma_f64 v[0:1], v[34:35], -0.5, v[0:1]
	v_fma_f64 v[12:13], v[32:33], s[6:7], v[26:27]
	v_fma_f64 v[26:27], v[32:33], s[2:3], v[26:27]
	v_add_f64 v[18:19], v[38:39], v[18:19]
	v_add_f64 v[6:7], v[6:7], v[22:23]
	v_add_f64 v[4:5], v[4:5], v[20:21]
	v_mul_f64 v[14:15], v[36:37], -0.5
	v_mul_f64 v[30:31], v[24:25], 0.5
	v_mul_f64 v[24:25], v[24:25], s[2:3]
	v_mul_f64 v[32:33], v[36:37], s[2:3]
	v_add_f64 v[8:9], v[8:9], v[16:17]
	v_fma_f64 v[16:17], v[28:29], s[2:3], v[2:3]
	v_fma_f64 v[20:21], v[28:29], s[6:7], v[2:3]
	;; [unrolled: 1-line block ×4, first 2 shown]
	v_add_f64 v[2:3], v[18:19], -v[6:7]
	v_add_f64 v[6:7], v[18:19], v[6:7]
	v_fma_f64 v[14:15], v[12:13], s[6:7], v[14:15]
	v_fma_f64 v[22:23], v[26:27], s[6:7], v[30:31]
	v_fma_f64 v[24:25], v[26:27], 0.5, v[24:25]
	v_fma_f64 v[26:27], v[12:13], -0.5, v[32:33]
	v_add_f64 v[0:1], v[8:9], -v[4:5]
	v_add_f64 v[4:5], v[8:9], v[4:5]
	v_add_f64 v[10:11], v[16:17], -v[14:15]
	v_add_f64 v[14:15], v[16:17], v[14:15]
	v_add_f64 v[18:19], v[20:21], v[22:23]
	;; [unrolled: 1-line block ×4, first 2 shown]
	v_add_f64 v[22:23], v[20:21], -v[22:23]
	v_add_f64 v[20:21], v[34:35], -v[24:25]
	v_add_f64 v[8:9], v[28:29], -v[26:27]
	v_lshlrev_b32_e32 v24, 4, v50
	s_delay_alu instid0(VALU_DEP_1)
	v_add3_u32 v24, 0, v24, v78
	ds_store_b128 v24, v[4:7] offset:14976
	ds_store_b128 v24, v[16:19] offset:15184
	ds_store_b128 v24, v[12:15] offset:15392
	ds_store_b128 v24, v[0:3] offset:15600
	ds_store_b128 v24, v[20:23] offset:15808
	ds_store_b128 v24, v[8:11] offset:16016
.LBB0_17:
	s_or_b32 exec_lo, exec_lo, s1
	v_mul_u32_u24_e32 v0, 12, v72
	s_waitcnt lgkmcnt(0)
	s_barrier
	buffer_gl0_inv
	v_add3_u32 v28, 0, v79, v78
	v_lshlrev_b32_e32 v36, 4, v0
	s_mov_b32 s40, 0x4267c47c
	s_mov_b32 s24, 0x42a4c3d2
	s_mov_b32 s38, 0x66966769
	s_mov_b32 s18, 0x2ef20147
	s_clause 0x4
	global_load_b128 v[0:3], v36, s[4:5] offset:1040
	global_load_b128 v[4:7], v36, s[4:5] offset:1056
	;; [unrolled: 1-line block ×5, first 2 shown]
	ds_load_b128 v[16:19], v103
	ds_load_b128 v[24:27], v73 offset:14976
	ds_load_b128 v[28:31], v28
	s_mov_b32 s30, 0x24c2f84
	s_mov_b32 s20, 0x4bc48dbf
	;; [unrolled: 1-line block ×31, first 2 shown]
	s_waitcnt vmcnt(4) lgkmcnt(2)
	v_mul_f64 v[32:33], v[18:19], v[2:3]
	v_mul_f64 v[2:3], v[16:17], v[2:3]
	s_delay_alu instid0(VALU_DEP_2) | instskip(NEXT) | instid1(VALU_DEP_2)
	v_fma_f64 v[44:45], v[16:17], v[0:1], v[32:33]
	v_fma_f64 v[46:47], v[18:19], v[0:1], -v[2:3]
	s_waitcnt vmcnt(3) lgkmcnt(0)
	v_mul_f64 v[0:1], v[28:29], v[6:7]
	v_mul_f64 v[2:3], v[30:31], v[6:7]
	s_waitcnt vmcnt(2)
	v_mul_f64 v[6:7], v[24:25], v[10:11]
	v_mul_f64 v[10:11], v[26:27], v[10:11]
	ds_load_b128 v[16:19], v73 offset:3744
	ds_load_b128 v[56:59], v100
	v_fma_f64 v[0:1], v[30:31], v[4:5], -v[0:1]
	v_fma_f64 v[2:3], v[28:29], v[4:5], v[2:3]
	v_fma_f64 v[4:5], v[26:27], v[8:9], -v[6:7]
	v_fma_f64 v[6:7], v[24:25], v[8:9], v[10:11]
	s_waitcnt vmcnt(1) lgkmcnt(1)
	v_mul_f64 v[8:9], v[16:17], v[14:15]
	v_mul_f64 v[10:11], v[18:19], v[14:15]
	global_load_b128 v[26:29], v36, s[4:5] offset:1088
	v_add_f64 v[64:65], v[44:45], v[6:7]
	v_fma_f64 v[14:15], v[18:19], v[12:13], -v[8:9]
	v_fma_f64 v[18:19], v[16:17], v[12:13], v[10:11]
	ds_load_b128 v[10:13], v73 offset:13728
	ds_load_b128 v[30:33], v73 offset:12480
	v_add_f64 v[92:93], v[44:45], -v[6:7]
	s_waitcnt lgkmcnt(2)
	v_add_f64 v[44:45], v[56:57], v[44:45]
	s_waitcnt vmcnt(1) lgkmcnt(1)
	v_mul_f64 v[8:9], v[10:11], v[22:23]
	s_delay_alu instid0(VALU_DEP_1) | instskip(SKIP_1) | instid1(VALU_DEP_1)
	v_fma_f64 v[8:9], v[12:13], v[20:21], -v[8:9]
	v_mul_f64 v[12:13], v[12:13], v[22:23]
	v_fma_f64 v[10:11], v[10:11], v[20:21], v[12:13]
	s_clause 0x1
	global_load_b128 v[20:23], v36, s[4:5] offset:1184
	global_load_b128 v[37:40], v36, s[4:5] offset:1168
	s_waitcnt vmcnt(1) lgkmcnt(0)
	v_mul_f64 v[12:13], v[30:31], v[22:23]
	v_mul_f64 v[16:17], v[32:33], v[22:23]
	s_delay_alu instid0(VALU_DEP_2) | instskip(NEXT) | instid1(VALU_DEP_2)
	v_fma_f64 v[12:13], v[32:33], v[20:21], -v[12:13]
	v_fma_f64 v[16:17], v[30:31], v[20:21], v[16:17]
	ds_load_b128 v[20:23], v73 offset:4992
	ds_load_b128 v[30:33], v73 offset:6240
	;; [unrolled: 1-line block ×4, first 2 shown]
	s_waitcnt lgkmcnt(3)
	v_mul_f64 v[24:25], v[22:23], v[28:29]
	v_add_f64 v[138:139], v[18:19], -v[16:17]
	s_delay_alu instid0(VALU_DEP_2) | instskip(SKIP_1) | instid1(VALU_DEP_1)
	v_fma_f64 v[24:25], v[20:21], v[26:27], v[24:25]
	v_mul_f64 v[20:21], v[20:21], v[28:29]
	v_fma_f64 v[26:27], v[22:23], v[26:27], -v[20:21]
	s_waitcnt vmcnt(0) lgkmcnt(1)
	v_mul_f64 v[20:21], v[50:51], v[39:40]
	v_mul_f64 v[22:23], v[48:49], v[39:40]
	s_delay_alu instid0(VALU_DEP_2) | instskip(NEXT) | instid1(VALU_DEP_2)
	v_fma_f64 v[20:21], v[48:49], v[37:38], v[20:21]
	v_fma_f64 v[22:23], v[50:51], v[37:38], -v[22:23]
	s_clause 0x1
	global_load_b128 v[37:40], v36, s[4:5] offset:1104
	global_load_b128 v[48:51], v36, s[4:5] offset:1120
	v_add_f64 v[144:145], v[24:25], v[20:21]
	v_add_f64 v[142:143], v[26:27], -v[22:23]
	v_add_f64 v[148:149], v[26:27], v[22:23]
	v_add_f64 v[150:151], v[24:25], -v[20:21]
	s_delay_alu instid0(VALU_DEP_3) | instskip(NEXT) | instid1(VALU_DEP_3)
	v_mul_f64 v[146:147], v[142:143], s[18:19]
	v_mul_f64 v[152:153], v[148:149], s[6:7]
	;; [unrolled: 1-line block ×6, first 2 shown]
	s_waitcnt vmcnt(1)
	v_mul_f64 v[28:29], v[32:33], v[39:40]
	s_delay_alu instid0(VALU_DEP_1) | instskip(SKIP_1) | instid1(VALU_DEP_1)
	v_fma_f64 v[28:29], v[30:31], v[37:38], v[28:29]
	v_mul_f64 v[30:31], v[30:31], v[39:40]
	v_fma_f64 v[30:31], v[32:33], v[37:38], -v[30:31]
	ds_load_b128 v[37:40], v73 offset:7488
	ds_load_b128 v[60:63], v73 offset:8736
	s_waitcnt vmcnt(0) lgkmcnt(1)
	v_mul_f64 v[32:33], v[39:40], v[50:51]
	v_mul_f64 v[34:35], v[37:38], v[50:51]
	s_delay_alu instid0(VALU_DEP_2) | instskip(NEXT) | instid1(VALU_DEP_2)
	v_fma_f64 v[32:33], v[37:38], v[48:49], v[32:33]
	v_fma_f64 v[34:35], v[39:40], v[48:49], -v[34:35]
	s_clause 0x1
	global_load_b128 v[38:41], v36, s[4:5] offset:1136
	global_load_b128 v[48:51], v36, s[4:5] offset:1152
	s_waitcnt vmcnt(0) lgkmcnt(0)
	s_barrier
	buffer_gl0_inv
	v_mul_f64 v[36:37], v[62:63], v[40:41]
	v_mul_f64 v[40:41], v[60:61], v[40:41]
	;; [unrolled: 1-line block ×3, first 2 shown]
	s_delay_alu instid0(VALU_DEP_3) | instskip(NEXT) | instid1(VALU_DEP_3)
	v_fma_f64 v[36:37], v[60:61], v[38:39], v[36:37]
	v_fma_f64 v[38:39], v[62:63], v[38:39], -v[40:41]
	v_mul_f64 v[40:41], v[54:55], v[50:51]
	s_delay_alu instid0(VALU_DEP_4) | instskip(NEXT) | instid1(VALU_DEP_4)
	v_fma_f64 v[42:43], v[54:55], v[48:49], -v[42:43]
	v_add_f64 v[168:169], v[32:33], v[36:37]
	s_delay_alu instid0(VALU_DEP_4) | instskip(NEXT) | instid1(VALU_DEP_4)
	v_add_f64 v[166:167], v[34:35], -v[38:39]
	v_fma_f64 v[40:41], v[52:53], v[48:49], v[40:41]
	v_add_f64 v[48:49], v[46:47], -v[4:5]
	v_add_f64 v[154:155], v[30:31], -v[42:43]
	v_add_f64 v[160:161], v[30:31], v[42:43]
	v_add_f64 v[172:173], v[34:35], v[38:39]
	v_add_f64 v[174:175], v[32:33], -v[36:37]
	v_mul_f64 v[170:171], v[166:167], s[20:21]
	v_add_f64 v[156:157], v[28:29], v[40:41]
	v_mul_f64 v[50:51], v[48:49], s[40:41]
	v_mul_f64 v[52:53], v[48:49], s[24:25]
	;; [unrolled: 1-line block ×7, first 2 shown]
	v_add_f64 v[162:163], v[28:29], -v[40:41]
	v_mul_f64 v[164:165], v[160:161], s[2:3]
	v_mul_f64 v[176:177], v[172:173], s[0:1]
	;; [unrolled: 1-line block ×12, first 2 shown]
	v_fma_f64 v[66:67], v[64:65], s[14:15], v[50:51]
	v_fma_f64 v[68:69], v[64:65], s[14:15], -v[50:51]
	v_fma_f64 v[70:71], v[64:65], s[10:11], v[52:53]
	v_fma_f64 v[52:53], v[64:65], s[10:11], -v[52:53]
	v_fma_f64 v[78:79], v[64:65], s[12:13], v[54:55]
	v_fma_f64 v[90:91], v[64:65], s[0:1], v[48:49]
	v_fma_f64 v[94:95], v[64:65], s[0:1], -v[48:49]
	v_add_f64 v[48:49], v[46:47], v[4:5]
	v_fma_f64 v[80:81], v[64:65], s[12:13], -v[54:55]
	v_fma_f64 v[82:83], v[64:65], s[6:7], v[60:61]
	v_fma_f64 v[84:85], v[64:65], s[6:7], -v[60:61]
	v_fma_f64 v[86:87], v[64:65], s[2:3], v[62:63]
	v_fma_f64 v[88:89], v[64:65], s[2:3], -v[62:63]
	v_add_f64 v[46:47], v[58:59], v[46:47]
	v_add_f64 v[122:123], v[56:57], v[68:69]
	;; [unrolled: 1-line block ×4, first 2 shown]
	v_mul_f64 v[50:51], v[48:49], s[14:15]
	v_mul_f64 v[54:55], v[48:49], s[10:11]
	;; [unrolled: 1-line block ×6, first 2 shown]
	v_add_f64 v[134:135], v[56:57], v[82:83]
	v_add_f64 v[70:71], v[56:57], v[88:89]
	v_fma_f64 v[96:97], v[92:93], s[36:37], v[50:51]
	v_fma_f64 v[98:99], v[92:93], s[40:41], v[50:51]
	;; [unrolled: 1-line block ×12, first 2 shown]
	v_add_f64 v[62:63], v[56:57], v[80:81]
	v_add_f64 v[80:81], v[56:57], v[94:95]
	v_add_f64 v[94:95], v[0:1], -v[8:9]
	v_add_f64 v[48:49], v[56:57], v[66:67]
	v_add_f64 v[54:55], v[56:57], v[52:53]
	;; [unrolled: 1-line block ×18, first 2 shown]
	v_mul_f64 v[58:59], v[94:95], s[24:25]
	v_add_f64 v[120:121], v[0:1], v[8:9]
	v_mul_f64 v[178:179], v[94:95], s[18:19]
	v_mul_f64 v[194:195], v[94:95], s[20:21]
	;; [unrolled: 1-line block ×3, first 2 shown]
	v_add_f64 v[0:1], v[46:47], v[0:1]
	v_fma_f64 v[82:83], v[56:57], s[10:11], -v[58:59]
	v_mul_f64 v[84:85], v[120:121], s[10:11]
	s_delay_alu instid0(VALU_DEP_3) | instskip(NEXT) | instid1(VALU_DEP_3)
	v_add_f64 v[0:1], v[0:1], v[14:15]
	v_add_f64 v[104:105], v[82:83], v[122:123]
	v_add_f64 v[82:83], v[2:3], -v[10:11]
	v_add_f64 v[122:123], v[14:15], -v[12:13]
	v_add_f64 v[2:3], v[44:45], v[2:3]
	v_add_f64 v[0:1], v[0:1], v[26:27]
	s_delay_alu instid0(VALU_DEP_4) | instskip(NEXT) | instid1(VALU_DEP_4)
	v_fma_f64 v[86:87], v[82:83], s[24:25], v[84:85]
	v_mul_f64 v[88:89], v[122:123], s[38:39]
	s_delay_alu instid0(VALU_DEP_4) | instskip(NEXT) | instid1(VALU_DEP_4)
	v_add_f64 v[2:3], v[2:3], v[18:19]
	v_add_f64 v[0:1], v[0:1], v[30:31]
	s_delay_alu instid0(VALU_DEP_4) | instskip(SKIP_4) | instid1(VALU_DEP_4)
	v_add_f64 v[106:107], v[86:87], v[124:125]
	v_add_f64 v[86:87], v[18:19], v[16:17]
	;; [unrolled: 1-line block ×5, first 2 shown]
	v_fma_f64 v[108:109], v[86:87], s[12:13], -v[88:89]
	s_delay_alu instid0(VALU_DEP_4)
	v_mul_f64 v[140:141], v[124:125], s[12:13]
	v_mul_f64 v[180:181], v[124:125], s[0:1]
	;; [unrolled: 1-line block ×3, first 2 shown]
	v_add_f64 v[2:3], v[2:3], v[28:29]
	v_add_f64 v[0:1], v[0:1], v[38:39]
	;; [unrolled: 1-line block ×3, first 2 shown]
	v_fma_f64 v[108:109], v[138:139], s[38:39], v[140:141]
	s_delay_alu instid0(VALU_DEP_4) | instskip(NEXT) | instid1(VALU_DEP_4)
	v_add_f64 v[2:3], v[2:3], v[32:33]
	v_add_f64 v[0:1], v[0:1], v[42:43]
	s_delay_alu instid0(VALU_DEP_3) | instskip(SKIP_1) | instid1(VALU_DEP_4)
	v_add_f64 v[106:107], v[108:109], v[106:107]
	v_fma_f64 v[108:109], v[144:145], s[6:7], -v[146:147]
	v_add_f64 v[2:3], v[2:3], v[36:37]
	s_delay_alu instid0(VALU_DEP_4) | instskip(NEXT) | instid1(VALU_DEP_3)
	v_add_f64 v[0:1], v[0:1], v[22:23]
	v_add_f64 v[104:105], v[108:109], v[104:105]
	v_fma_f64 v[108:109], v[150:151], s[18:19], v[152:153]
	s_delay_alu instid0(VALU_DEP_4) | instskip(NEXT) | instid1(VALU_DEP_4)
	v_add_f64 v[2:3], v[2:3], v[40:41]
	v_add_f64 v[0:1], v[0:1], v[12:13]
	v_sub_nc_u32_e32 v12, v101, v102
	s_delay_alu instid0(VALU_DEP_4) | instskip(SKIP_3) | instid1(VALU_DEP_3)
	v_add_f64 v[106:107], v[108:109], v[106:107]
	v_fma_f64 v[108:109], v[156:157], s[2:3], -v[158:159]
	v_add_f64 v[2:3], v[2:3], v[20:21]
	v_add_f64 v[8:9], v[0:1], v[8:9]
	;; [unrolled: 1-line block ×3, first 2 shown]
	v_fma_f64 v[108:109], v[162:163], s[30:31], v[164:165]
	s_delay_alu instid0(VALU_DEP_4) | instskip(NEXT) | instid1(VALU_DEP_2)
	v_add_f64 v[2:3], v[2:3], v[16:17]
	v_add_f64 v[106:107], v[108:109], v[106:107]
	v_fma_f64 v[108:109], v[168:169], s[0:1], -v[170:171]
	s_delay_alu instid0(VALU_DEP_3) | instskip(NEXT) | instid1(VALU_DEP_2)
	v_add_f64 v[2:3], v[2:3], v[10:11]
                                        ; implicit-def: $vgpr10_vgpr11
	v_add_f64 v[104:105], v[108:109], v[104:105]
	v_fma_f64 v[108:109], v[174:175], s[20:21], v[176:177]
	s_delay_alu instid0(VALU_DEP_3) | instskip(SKIP_1) | instid1(VALU_DEP_3)
	v_add_f64 v[0:1], v[2:3], v[6:7]
	v_add_f64 v[2:3], v[8:9], v[4:5]
                                        ; implicit-def: $vgpr8_vgpr9
	v_add_f64 v[106:107], v[108:109], v[106:107]
	v_fma_f64 v[108:109], v[56:57], s[6:7], v[178:179]
	s_delay_alu instid0(VALU_DEP_1) | instskip(SKIP_1) | instid1(VALU_DEP_1)
	v_add_f64 v[108:109], v[108:109], v[126:127]
	v_mul_f64 v[126:127], v[120:121], s[6:7]
	v_fma_f64 v[110:111], v[82:83], s[26:27], v[126:127]
	s_delay_alu instid0(VALU_DEP_1) | instskip(SKIP_1) | instid1(VALU_DEP_1)
	v_add_f64 v[110:111], v[110:111], v[128:129]
	v_mul_f64 v[128:129], v[122:123], s[20:21]
	v_fma_f64 v[112:113], v[86:87], s[0:1], v[128:129]
	s_delay_alu instid0(VALU_DEP_1) | instskip(SKIP_1) | instid1(VALU_DEP_1)
	v_add_f64 v[108:109], v[112:113], v[108:109]
	v_fma_f64 v[112:113], v[138:139], s[16:17], v[180:181]
	v_add_f64 v[110:111], v[112:113], v[110:111]
	v_fma_f64 v[112:113], v[144:145], s[2:3], v[182:183]
	s_delay_alu instid0(VALU_DEP_1) | instskip(SKIP_1) | instid1(VALU_DEP_1)
	v_add_f64 v[108:109], v[112:113], v[108:109]
	v_fma_f64 v[112:113], v[150:151], s[30:31], v[184:185]
	v_add_f64 v[110:111], v[112:113], v[110:111]
	;; [unrolled: 5-line block ×4, first 2 shown]
	v_fma_f64 v[112:113], v[56:57], s[0:1], v[194:195]
	s_delay_alu instid0(VALU_DEP_1) | instskip(SKIP_1) | instid1(VALU_DEP_1)
	v_add_f64 v[112:113], v[112:113], v[130:131]
	v_mul_f64 v[130:131], v[120:121], s[0:1]
	v_fma_f64 v[114:115], v[82:83], s[16:17], v[130:131]
	s_delay_alu instid0(VALU_DEP_1) | instskip(SKIP_1) | instid1(VALU_DEP_1)
	v_add_f64 v[114:115], v[114:115], v[132:133]
	v_mul_f64 v[132:133], v[122:123], s[26:27]
	v_fma_f64 v[116:117], v[86:87], s[6:7], v[132:133]
	s_delay_alu instid0(VALU_DEP_1) | instskip(SKIP_1) | instid1(VALU_DEP_1)
	v_add_f64 v[112:113], v[116:117], v[112:113]
	v_fma_f64 v[116:117], v[138:139], s[18:19], v[196:197]
	v_add_f64 v[114:115], v[116:117], v[114:115]
	v_fma_f64 v[116:117], v[144:145], s[14:15], v[198:199]
	s_delay_alu instid0(VALU_DEP_1) | instskip(SKIP_1) | instid1(VALU_DEP_1)
	v_add_f64 v[112:113], v[116:117], v[112:113]
	v_fma_f64 v[116:117], v[150:151], s[40:41], v[200:201]
	v_add_f64 v[114:115], v[116:117], v[114:115]
	;; [unrolled: 5-line block ×4, first 2 shown]
	v_fma_f64 v[116:117], v[56:57], s[2:3], v[210:211]
	s_delay_alu instid0(VALU_DEP_1) | instskip(SKIP_1) | instid1(VALU_DEP_1)
	v_add_f64 v[116:117], v[116:117], v[134:135]
	v_mul_f64 v[134:135], v[120:121], s[2:3]
	v_fma_f64 v[118:119], v[82:83], s[30:31], v[134:135]
	s_delay_alu instid0(VALU_DEP_1) | instskip(SKIP_1) | instid1(VALU_DEP_1)
	v_add_f64 v[118:119], v[118:119], v[136:137]
	v_mul_f64 v[136:137], v[122:123], s[36:37]
	;; [unrolled: 4-line block ×7, first 2 shown]
	v_fma_f64 v[222:223], v[162:163], s[20:21], v[220:221]
	s_delay_alu instid0(VALU_DEP_1) | instskip(SKIP_2) | instid1(VALU_DEP_2)
	v_add_f64 v[118:119], v[222:223], v[118:119]
	v_mul_f64 v[222:223], v[166:167], s[34:35]
	v_mul_f64 v[166:167], v[166:167], s[28:29]
	v_fma_f64 v[224:225], v[168:169], s[10:11], v[222:223]
	s_delay_alu instid0(VALU_DEP_1) | instskip(SKIP_2) | instid1(VALU_DEP_2)
	v_add_f64 v[116:117], v[224:225], v[116:117]
	v_mul_f64 v[224:225], v[172:173], s[10:11]
	v_mul_f64 v[172:173], v[172:173], s[12:13]
	;; [unrolled: 5-line block ×10, first 2 shown]
	v_fma_f64 v[242:243], v[162:163], s[40:41], v[240:241]
	s_delay_alu instid0(VALU_DEP_1) | instskip(SKIP_1) | instid1(VALU_DEP_1)
	v_add_f64 v[242:243], v[242:243], v[96:97]
	v_fma_f64 v[96:97], v[168:169], s[6:7], v[244:245]
	v_add_f64 v[96:97], v[96:97], v[98:99]
	v_fma_f64 v[98:99], v[174:175], s[26:27], v[246:247]
	s_delay_alu instid0(VALU_DEP_1) | instskip(SKIP_2) | instid1(VALU_DEP_2)
	v_add_f64 v[98:99], v[98:99], v[242:243]
	v_fma_f64 v[242:243], v[56:57], s[14:15], v[94:95]
	v_fma_f64 v[94:95], v[56:57], s[14:15], -v[94:95]
	v_add_f64 v[92:93], v[242:243], v[92:93]
	s_delay_alu instid0(VALU_DEP_2) | instskip(SKIP_3) | instid1(VALU_DEP_3)
	v_add_f64 v[80:81], v[94:95], v[80:81]
	v_fma_f64 v[94:95], v[82:83], s[36:37], v[120:121]
	v_fma_f64 v[242:243], v[82:83], s[40:41], v[120:121]
	;; [unrolled: 1-line block ×3, first 2 shown]
	v_add_f64 v[78:79], v[94:95], v[78:79]
	v_fma_f64 v[94:95], v[86:87], s[2:3], -v[122:123]
	s_delay_alu instid0(VALU_DEP_4) | instskip(SKIP_1) | instid1(VALU_DEP_3)
	v_add_f64 v[90:91], v[242:243], v[90:91]
	v_fma_f64 v[242:243], v[86:87], s[2:3], v[122:123]
	v_add_f64 v[80:81], v[94:95], v[80:81]
	v_fma_f64 v[94:95], v[138:139], s[30:31], v[124:125]
	s_delay_alu instid0(VALU_DEP_3) | instskip(SKIP_1) | instid1(VALU_DEP_3)
	v_add_f64 v[92:93], v[242:243], v[92:93]
	v_fma_f64 v[242:243], v[138:139], s[22:23], v[124:125]
	v_add_f64 v[78:79], v[94:95], v[78:79]
	v_fma_f64 v[94:95], v[144:145], s[10:11], -v[142:143]
	s_delay_alu instid0(VALU_DEP_3) | instskip(SKIP_1) | instid1(VALU_DEP_3)
	v_add_f64 v[90:91], v[242:243], v[90:91]
	v_fma_f64 v[242:243], v[144:145], s[10:11], v[142:143]
	v_add_f64 v[80:81], v[94:95], v[80:81]
	v_fma_f64 v[94:95], v[150:151], s[34:35], v[148:149]
	s_delay_alu instid0(VALU_DEP_3) | instskip(SKIP_1) | instid1(VALU_DEP_3)
	v_add_f64 v[92:93], v[242:243], v[92:93]
	v_fma_f64 v[242:243], v[150:151], s[24:25], v[148:149]
	v_add_f64 v[78:79], v[94:95], v[78:79]
	v_fma_f64 v[94:95], v[156:157], s[6:7], -v[154:155]
	s_delay_alu instid0(VALU_DEP_3) | instskip(SKIP_1) | instid1(VALU_DEP_3)
	;; [unrolled: 10-line block ×3, first 2 shown]
	v_add_f64 v[242:243], v[242:243], v[90:91]
	v_fma_f64 v[90:91], v[168:169], s[12:13], v[166:167]
	v_add_f64 v[78:79], v[78:79], v[80:81]
	v_add_f64 v[80:81], v[120:121], v[94:95]
	v_fma_f64 v[94:95], v[56:57], s[12:13], -v[226:227]
	v_fma_f64 v[120:121], v[174:175], s[18:19], v[246:247]
	v_add_f64 v[90:91], v[90:91], v[92:93]
	v_fma_f64 v[92:93], v[174:175], s[38:39], v[172:173]
	s_delay_alu instid0(VALU_DEP_4) | instskip(SKIP_1) | instid1(VALU_DEP_3)
	v_add_f64 v[70:71], v[94:95], v[70:71]
	v_fma_f64 v[94:95], v[82:83], s[28:29], v[228:229]
	v_add_f64 v[92:93], v[92:93], v[242:243]
	s_delay_alu instid0(VALU_DEP_2) | instskip(SKIP_1) | instid1(VALU_DEP_1)
	v_add_f64 v[68:69], v[94:95], v[68:69]
	v_fma_f64 v[94:95], v[86:87], s[10:11], -v[230:231]
	v_add_f64 v[70:71], v[94:95], v[70:71]
	v_fma_f64 v[94:95], v[138:139], s[24:25], v[232:233]
	s_delay_alu instid0(VALU_DEP_1) | instskip(SKIP_1) | instid1(VALU_DEP_1)
	v_add_f64 v[68:69], v[94:95], v[68:69]
	v_fma_f64 v[94:95], v[144:145], s[0:1], -v[234:235]
	v_add_f64 v[70:71], v[94:95], v[70:71]
	v_fma_f64 v[94:95], v[150:151], s[16:17], v[236:237]
	s_delay_alu instid0(VALU_DEP_1) | instskip(SKIP_1) | instid1(VALU_DEP_1)
	;; [unrolled: 5-line block ×3, first 2 shown]
	v_add_f64 v[94:95], v[94:95], v[68:69]
	v_fma_f64 v[68:69], v[168:169], s[6:7], -v[244:245]
	v_add_f64 v[68:69], v[68:69], v[70:71]
	s_delay_alu instid0(VALU_DEP_3) | instskip(SKIP_2) | instid1(VALU_DEP_2)
	v_add_f64 v[70:71], v[120:121], v[94:95]
	v_fma_f64 v[94:95], v[56:57], s[2:3], -v[210:211]
	v_fma_f64 v[120:121], v[174:175], s[34:35], v[224:225]
	v_add_f64 v[66:67], v[94:95], v[66:67]
	v_fma_f64 v[94:95], v[82:83], s[22:23], v[134:135]
	s_delay_alu instid0(VALU_DEP_1) | instskip(SKIP_1) | instid1(VALU_DEP_1)
	v_add_f64 v[64:65], v[94:95], v[64:65]
	v_fma_f64 v[94:95], v[86:87], s[14:15], -v[136:137]
	v_add_f64 v[66:67], v[94:95], v[66:67]
	v_fma_f64 v[94:95], v[138:139], s[36:37], v[212:213]
	s_delay_alu instid0(VALU_DEP_1) | instskip(SKIP_1) | instid1(VALU_DEP_1)
	v_add_f64 v[64:65], v[94:95], v[64:65]
	v_fma_f64 v[94:95], v[144:145], s[12:13], -v[214:215]
	;; [unrolled: 5-line block ×4, first 2 shown]
	v_add_f64 v[64:65], v[64:65], v[66:67]
	s_delay_alu instid0(VALU_DEP_3) | instskip(SKIP_2) | instid1(VALU_DEP_2)
	v_add_f64 v[66:67], v[120:121], v[94:95]
	v_fma_f64 v[94:95], v[56:57], s[0:1], -v[194:195]
	v_fma_f64 v[120:121], v[174:175], s[30:31], v[208:209]
	v_add_f64 v[62:63], v[94:95], v[62:63]
	v_fma_f64 v[94:95], v[82:83], s[20:21], v[130:131]
	s_delay_alu instid0(VALU_DEP_1) | instskip(SKIP_1) | instid1(VALU_DEP_1)
	v_add_f64 v[60:61], v[94:95], v[60:61]
	v_fma_f64 v[94:95], v[86:87], s[6:7], -v[132:133]
	v_add_f64 v[62:63], v[94:95], v[62:63]
	v_fma_f64 v[94:95], v[138:139], s[26:27], v[196:197]
	s_delay_alu instid0(VALU_DEP_1) | instskip(SKIP_1) | instid1(VALU_DEP_1)
	v_add_f64 v[60:61], v[94:95], v[60:61]
	v_fma_f64 v[94:95], v[144:145], s[14:15], -v[198:199]
	;; [unrolled: 5-line block ×4, first 2 shown]
	v_add_f64 v[60:61], v[60:61], v[62:63]
	s_delay_alu instid0(VALU_DEP_3)
	v_add_f64 v[62:63], v[120:121], v[94:95]
	v_fma_f64 v[94:95], v[56:57], s[6:7], -v[178:179]
	v_fma_f64 v[56:57], v[56:57], s[10:11], v[58:59]
	v_fma_f64 v[58:59], v[82:83], s[34:35], v[84:85]
	;; [unrolled: 1-line block ×4, first 2 shown]
	v_add_f64 v[54:55], v[94:95], v[54:55]
	v_fma_f64 v[94:95], v[82:83], s[18:19], v[126:127]
	v_fma_f64 v[82:83], v[86:87], s[12:13], v[88:89]
	v_add_f64 v[48:49], v[56:57], v[48:49]
	v_add_f64 v[50:51], v[58:59], v[50:51]
	v_fma_f64 v[56:57], v[144:145], s[6:7], v[146:147]
	v_fma_f64 v[58:59], v[150:151], s[26:27], v[152:153]
	v_add_f64 v[52:53], v[94:95], v[52:53]
	v_fma_f64 v[94:95], v[86:87], s[0:1], -v[128:129]
	v_add_f64 v[48:49], v[82:83], v[48:49]
	v_add_f64 v[50:51], v[84:85], v[50:51]
	v_fma_f64 v[82:83], v[156:157], s[2:3], v[158:159]
	v_fma_f64 v[84:85], v[162:163], s[22:23], v[164:165]
	v_add_f64 v[54:55], v[94:95], v[54:55]
	v_fma_f64 v[94:95], v[138:139], s[20:21], v[180:181]
	v_add_f64 v[48:49], v[56:57], v[48:49]
	v_add_f64 v[50:51], v[58:59], v[50:51]
	v_fma_f64 v[56:57], v[168:169], s[0:1], v[170:171]
	v_fma_f64 v[58:59], v[174:175], s[16:17], v[176:177]
	s_add_u32 s1, s4, 0x3e90
	v_add_f64 v[52:53], v[94:95], v[52:53]
	v_fma_f64 v[94:95], v[144:145], s[2:3], -v[182:183]
	v_add_f64 v[48:49], v[82:83], v[48:49]
	v_add_f64 v[50:51], v[84:85], v[50:51]
	s_addc_u32 s2, s5, 0
	s_mov_b32 s3, exec_lo
	s_delay_alu instid0(VALU_DEP_3) | instskip(SKIP_1) | instid1(VALU_DEP_4)
	v_add_f64 v[54:55], v[94:95], v[54:55]
	v_fma_f64 v[94:95], v[150:151], s[22:23], v[184:185]
	v_add_f64 v[48:49], v[56:57], v[48:49]
	s_delay_alu instid0(VALU_DEP_4) | instskip(NEXT) | instid1(VALU_DEP_3)
	v_add_f64 v[50:51], v[58:59], v[50:51]
	v_add_f64 v[52:53], v[94:95], v[52:53]
	v_fma_f64 v[94:95], v[156:157], s[12:13], -v[186:187]
	s_delay_alu instid0(VALU_DEP_1) | instskip(SKIP_1) | instid1(VALU_DEP_1)
	v_add_f64 v[54:55], v[94:95], v[54:55]
	v_fma_f64 v[94:95], v[162:163], s[28:29], v[188:189]
	v_add_f64 v[94:95], v[94:95], v[52:53]
	v_fma_f64 v[52:53], v[168:169], s[14:15], -v[190:191]
	s_delay_alu instid0(VALU_DEP_1) | instskip(NEXT) | instid1(VALU_DEP_3)
	v_add_f64 v[52:53], v[52:53], v[54:55]
	v_add_f64 v[54:55], v[120:121], v[94:95]
	ds_store_b128 v73, v[108:111] offset:2496
	ds_store_b128 v73, v[112:115] offset:3744
	;; [unrolled: 1-line block ×12, first 2 shown]
	ds_store_b128 v73, v[0:3]
	s_waitcnt lgkmcnt(0)
	s_barrier
	buffer_gl0_inv
	ds_load_b128 v[4:7], v100
                                        ; implicit-def: $vgpr2_vgpr3
	v_cmpx_ne_u32_e32 0, v72
	s_xor_b32 s3, exec_lo, s3
	s_cbranch_execz .LBB0_19
; %bb.18:
	v_mov_b32_e32 v73, 0
	s_delay_alu instid0(VALU_DEP_1) | instskip(NEXT) | instid1(VALU_DEP_1)
	v_lshlrev_b64 v[0:1], 4, v[72:73]
	v_add_co_u32 v0, s0, s1, v0
	s_delay_alu instid0(VALU_DEP_1)
	v_add_co_ci_u32_e64 v1, s0, s2, v1, s0
	global_load_b128 v[8:11], v[0:1], off
	ds_load_b128 v[0:3], v12 offset:16224
	s_waitcnt lgkmcnt(0)
	v_add_f64 v[13:14], v[4:5], -v[0:1]
	v_add_f64 v[15:16], v[6:7], v[2:3]
	v_add_f64 v[2:3], v[6:7], -v[2:3]
	v_add_f64 v[0:1], v[4:5], v[0:1]
	s_delay_alu instid0(VALU_DEP_4) | instskip(NEXT) | instid1(VALU_DEP_4)
	v_mul_f64 v[6:7], v[13:14], 0.5
	v_mul_f64 v[4:5], v[15:16], 0.5
	s_delay_alu instid0(VALU_DEP_4) | instskip(SKIP_1) | instid1(VALU_DEP_3)
	v_mul_f64 v[2:3], v[2:3], 0.5
	s_waitcnt vmcnt(0)
	v_mul_f64 v[13:14], v[6:7], v[10:11]
	s_delay_alu instid0(VALU_DEP_2) | instskip(SKIP_1) | instid1(VALU_DEP_3)
	v_fma_f64 v[15:16], v[4:5], v[10:11], v[2:3]
	v_fma_f64 v[2:3], v[4:5], v[10:11], -v[2:3]
	v_fma_f64 v[17:18], v[0:1], 0.5, v[13:14]
	v_fma_f64 v[0:1], v[0:1], 0.5, -v[13:14]
	s_delay_alu instid0(VALU_DEP_4) | instskip(NEXT) | instid1(VALU_DEP_4)
	v_fma_f64 v[10:11], -v[8:9], v[6:7], v[15:16]
	v_fma_f64 v[2:3], -v[8:9], v[6:7], v[2:3]
	s_delay_alu instid0(VALU_DEP_4) | instskip(NEXT) | instid1(VALU_DEP_4)
	v_fma_f64 v[13:14], v[4:5], v[8:9], v[17:18]
	v_fma_f64 v[0:1], -v[4:5], v[8:9], v[0:1]
	v_dual_mov_b32 v8, v72 :: v_dual_mov_b32 v9, v73
                                        ; implicit-def: $vgpr4_vgpr5
	ds_store_b64 v100, v[13:14]
.LBB0_19:
	s_and_not1_saveexec_b32 s0, s3
	s_cbranch_execz .LBB0_21
; %bb.20:
	s_waitcnt lgkmcnt(0)
	v_add_f64 v[13:14], v[4:5], v[6:7]
	v_add_f64 v[0:1], v[4:5], -v[6:7]
	ds_load_b64 v[4:5], v101 offset:8120
	v_mov_b32_e32 v10, 0
	v_dual_mov_b32 v11, 0 :: v_dual_mov_b32 v8, 0
	s_delay_alu instid0(VALU_DEP_2) | instskip(NEXT) | instid1(VALU_DEP_2)
	v_dual_mov_b32 v9, 0 :: v_dual_mov_b32 v2, v10
	v_mov_b32_e32 v3, v11
	s_waitcnt lgkmcnt(0)
	v_xor_b32_e32 v5, 0x80000000, v5
	ds_store_b64 v100, v[13:14]
	ds_store_b64 v101, v[4:5] offset:8120
.LBB0_21:
	s_or_b32 exec_lo, exec_lo, s0
	v_mov_b32_e32 v78, 0
	v_lshl_add_u32 v31, v76, 4, v101
	s_waitcnt lgkmcnt(0)
	s_delay_alu instid0(VALU_DEP_2) | instskip(SKIP_1) | instid1(VALU_DEP_1)
	v_lshlrev_b64 v[4:5], 4, v[77:78]
	v_mov_b32_e32 v77, v78
	v_lshlrev_b64 v[13:14], 4, v[76:77]
	s_delay_alu instid0(VALU_DEP_3) | instskip(NEXT) | instid1(VALU_DEP_1)
	v_add_co_u32 v4, s0, s1, v4
	v_add_co_ci_u32_e64 v5, s0, s2, v5, s0
	s_delay_alu instid0(VALU_DEP_3)
	v_add_co_u32 v13, s0, s1, v13
	global_load_b128 v[4:7], v[4:5], off
	v_add_co_ci_u32_e64 v14, s0, s2, v14, s0
	global_load_b128 v[13:16], v[13:14], off
	ds_store_b64 v100, v[10:11] offset:8
	ds_store_b128 v12, v[0:3] offset:16224
	ds_load_b128 v[17:20], v103
	ds_load_b128 v[21:24], v12 offset:14976
	s_waitcnt lgkmcnt(0)
	v_add_f64 v[0:1], v[17:18], -v[21:22]
	v_add_f64 v[2:3], v[19:20], v[23:24]
	v_add_f64 v[19:20], v[19:20], -v[23:24]
	v_add_f64 v[17:18], v[17:18], v[21:22]
	s_delay_alu instid0(VALU_DEP_4) | instskip(NEXT) | instid1(VALU_DEP_4)
	v_mul_f64 v[23:24], v[0:1], 0.5
	v_mul_f64 v[2:3], v[2:3], 0.5
	s_delay_alu instid0(VALU_DEP_4) | instskip(SKIP_1) | instid1(VALU_DEP_1)
	v_mul_f64 v[19:20], v[19:20], 0.5
	v_lshlrev_b64 v[0:1], 4, v[8:9]
	v_add_co_u32 v25, s0, s1, v0
	s_delay_alu instid0(VALU_DEP_1)
	v_add_co_ci_u32_e64 v26, s0, s2, v1, s0
	s_mov_b32 s1, exec_lo
	global_load_b128 v[8:11], v[25:26], off offset:3744
	s_waitcnt vmcnt(2)
	v_mul_f64 v[21:22], v[23:24], v[6:7]
	v_fma_f64 v[27:28], v[2:3], v[6:7], v[19:20]
	v_fma_f64 v[6:7], v[2:3], v[6:7], -v[19:20]
	s_delay_alu instid0(VALU_DEP_3) | instskip(SKIP_1) | instid1(VALU_DEP_4)
	v_fma_f64 v[29:30], v[17:18], 0.5, v[21:22]
	v_fma_f64 v[21:22], v[17:18], 0.5, -v[21:22]
	v_fma_f64 v[19:20], -v[4:5], v[23:24], v[27:28]
	s_delay_alu instid0(VALU_DEP_4) | instskip(NEXT) | instid1(VALU_DEP_4)
	v_fma_f64 v[6:7], -v[4:5], v[23:24], v[6:7]
	v_fma_f64 v[17:18], v[2:3], v[4:5], v[29:30]
	s_delay_alu instid0(VALU_DEP_4)
	v_fma_f64 v[4:5], -v[2:3], v[4:5], v[21:22]
	ds_store_b128 v103, v[17:20]
	ds_store_b128 v12, v[4:7] offset:14976
	ds_load_b128 v[4:7], v31
	ds_load_b128 v[17:20], v12 offset:13728
	s_waitcnt lgkmcnt(0)
	v_add_f64 v[2:3], v[4:5], -v[17:18]
	v_add_f64 v[23:24], v[6:7], v[19:20]
	v_add_f64 v[6:7], v[6:7], -v[19:20]
	v_add_f64 v[4:5], v[4:5], v[17:18]
	s_delay_alu instid0(VALU_DEP_4) | instskip(NEXT) | instid1(VALU_DEP_4)
	v_mul_f64 v[27:28], v[2:3], 0.5
	v_mul_f64 v[23:24], v[23:24], 0.5
	s_delay_alu instid0(VALU_DEP_4) | instskip(SKIP_1) | instid1(VALU_DEP_1)
	v_mul_f64 v[6:7], v[6:7], 0.5
	v_add_co_u32 v2, s0, 0x1000, v25
	v_add_co_ci_u32_e64 v3, s0, 0, v26, s0
	global_load_b128 v[19:22], v[2:3], off offset:896
	s_waitcnt vmcnt(2)
	v_mul_f64 v[17:18], v[27:28], v[15:16]
	v_fma_f64 v[25:26], v[23:24], v[15:16], v[6:7]
	v_fma_f64 v[15:16], v[23:24], v[15:16], -v[6:7]
	s_delay_alu instid0(VALU_DEP_3) | instskip(SKIP_1) | instid1(VALU_DEP_4)
	v_fma_f64 v[29:30], v[4:5], 0.5, v[17:18]
	v_fma_f64 v[17:18], v[4:5], 0.5, -v[17:18]
	v_fma_f64 v[6:7], -v[13:14], v[27:28], v[25:26]
	s_delay_alu instid0(VALU_DEP_4) | instskip(NEXT) | instid1(VALU_DEP_4)
	v_fma_f64 v[15:16], -v[13:14], v[27:28], v[15:16]
	v_fma_f64 v[4:5], v[23:24], v[13:14], v[29:30]
	s_delay_alu instid0(VALU_DEP_4)
	v_fma_f64 v[13:14], -v[23:24], v[13:14], v[17:18]
	ds_store_b128 v31, v[4:7]
	ds_store_b128 v12, v[13:16] offset:13728
	ds_load_b128 v[4:7], v100 offset:3744
	ds_load_b128 v[13:16], v12 offset:12480
	s_waitcnt lgkmcnt(0)
	v_add_f64 v[17:18], v[4:5], -v[13:14]
	v_add_f64 v[23:24], v[6:7], v[15:16]
	v_add_f64 v[6:7], v[6:7], -v[15:16]
	v_add_f64 v[4:5], v[4:5], v[13:14]
	s_delay_alu instid0(VALU_DEP_4) | instskip(NEXT) | instid1(VALU_DEP_4)
	v_mul_f64 v[15:16], v[17:18], 0.5
	v_mul_f64 v[17:18], v[23:24], 0.5
	s_delay_alu instid0(VALU_DEP_4) | instskip(SKIP_1) | instid1(VALU_DEP_3)
	v_mul_f64 v[6:7], v[6:7], 0.5
	s_waitcnt vmcnt(1)
	v_mul_f64 v[13:14], v[15:16], v[10:11]
	s_delay_alu instid0(VALU_DEP_2) | instskip(SKIP_1) | instid1(VALU_DEP_3)
	v_fma_f64 v[23:24], v[17:18], v[10:11], v[6:7]
	v_fma_f64 v[10:11], v[17:18], v[10:11], -v[6:7]
	v_fma_f64 v[25:26], v[4:5], 0.5, v[13:14]
	v_fma_f64 v[13:14], v[4:5], 0.5, -v[13:14]
	s_delay_alu instid0(VALU_DEP_4) | instskip(NEXT) | instid1(VALU_DEP_4)
	v_fma_f64 v[6:7], -v[8:9], v[15:16], v[23:24]
	v_fma_f64 v[10:11], -v[8:9], v[15:16], v[10:11]
	s_delay_alu instid0(VALU_DEP_4) | instskip(NEXT) | instid1(VALU_DEP_4)
	v_fma_f64 v[4:5], v[17:18], v[8:9], v[25:26]
	v_fma_f64 v[8:9], -v[17:18], v[8:9], v[13:14]
	global_load_b128 v[13:16], v[2:3], off offset:2144
	ds_store_b128 v100, v[4:7] offset:3744
	ds_store_b128 v12, v[8:11] offset:12480
	ds_load_b128 v[4:7], v100 offset:4992
	ds_load_b128 v[8:11], v12 offset:11232
	s_waitcnt lgkmcnt(0)
	v_add_f64 v[17:18], v[4:5], -v[8:9]
	v_add_f64 v[23:24], v[6:7], v[10:11]
	v_add_f64 v[6:7], v[6:7], -v[10:11]
	v_add_f64 v[4:5], v[4:5], v[8:9]
	s_delay_alu instid0(VALU_DEP_4) | instskip(NEXT) | instid1(VALU_DEP_4)
	v_mul_f64 v[10:11], v[17:18], 0.5
	v_mul_f64 v[17:18], v[23:24], 0.5
	s_delay_alu instid0(VALU_DEP_4) | instskip(SKIP_1) | instid1(VALU_DEP_3)
	v_mul_f64 v[6:7], v[6:7], 0.5
	s_waitcnt vmcnt(1)
	v_mul_f64 v[8:9], v[10:11], v[21:22]
	s_delay_alu instid0(VALU_DEP_2) | instskip(SKIP_1) | instid1(VALU_DEP_3)
	v_fma_f64 v[23:24], v[17:18], v[21:22], v[6:7]
	v_fma_f64 v[21:22], v[17:18], v[21:22], -v[6:7]
	v_fma_f64 v[25:26], v[4:5], 0.5, v[8:9]
	v_fma_f64 v[8:9], v[4:5], 0.5, -v[8:9]
	s_delay_alu instid0(VALU_DEP_4) | instskip(NEXT) | instid1(VALU_DEP_4)
	v_fma_f64 v[6:7], -v[19:20], v[10:11], v[23:24]
	v_fma_f64 v[10:11], -v[19:20], v[10:11], v[21:22]
	s_delay_alu instid0(VALU_DEP_4) | instskip(NEXT) | instid1(VALU_DEP_4)
	v_fma_f64 v[4:5], v[17:18], v[19:20], v[25:26]
	v_fma_f64 v[8:9], -v[17:18], v[19:20], v[8:9]
	ds_store_b128 v100, v[4:7] offset:4992
	ds_store_b128 v12, v[8:11] offset:11232
	ds_load_b128 v[4:7], v100 offset:6240
	ds_load_b128 v[8:11], v12 offset:9984
	s_waitcnt lgkmcnt(0)
	v_add_f64 v[17:18], v[4:5], -v[8:9]
	v_add_f64 v[19:20], v[6:7], v[10:11]
	v_add_f64 v[6:7], v[6:7], -v[10:11]
	v_add_f64 v[4:5], v[4:5], v[8:9]
	s_delay_alu instid0(VALU_DEP_4) | instskip(NEXT) | instid1(VALU_DEP_4)
	v_mul_f64 v[10:11], v[17:18], 0.5
	v_mul_f64 v[17:18], v[19:20], 0.5
	s_delay_alu instid0(VALU_DEP_4) | instskip(SKIP_1) | instid1(VALU_DEP_3)
	v_mul_f64 v[6:7], v[6:7], 0.5
	s_waitcnt vmcnt(0)
	v_mul_f64 v[8:9], v[10:11], v[15:16]
	s_delay_alu instid0(VALU_DEP_2) | instskip(SKIP_1) | instid1(VALU_DEP_3)
	v_fma_f64 v[19:20], v[17:18], v[15:16], v[6:7]
	v_fma_f64 v[15:16], v[17:18], v[15:16], -v[6:7]
	v_fma_f64 v[21:22], v[4:5], 0.5, v[8:9]
	v_fma_f64 v[8:9], v[4:5], 0.5, -v[8:9]
	s_delay_alu instid0(VALU_DEP_4) | instskip(NEXT) | instid1(VALU_DEP_4)
	v_fma_f64 v[6:7], -v[13:14], v[10:11], v[19:20]
	v_fma_f64 v[10:11], -v[13:14], v[10:11], v[15:16]
	s_delay_alu instid0(VALU_DEP_4) | instskip(NEXT) | instid1(VALU_DEP_4)
	v_fma_f64 v[4:5], v[17:18], v[13:14], v[21:22]
	v_fma_f64 v[8:9], -v[17:18], v[13:14], v[8:9]
	ds_store_b128 v100, v[4:7] offset:6240
	ds_store_b128 v12, v[8:11] offset:9984
	v_cmpx_gt_u32_e32 39, v72
	s_cbranch_execz .LBB0_23
; %bb.22:
	global_load_b128 v[2:5], v[2:3], off offset:3392
	ds_load_b128 v[6:9], v100 offset:7488
	ds_load_b128 v[13:16], v12 offset:8736
	s_waitcnt lgkmcnt(0)
	v_add_f64 v[10:11], v[6:7], -v[13:14]
	v_add_f64 v[17:18], v[8:9], v[15:16]
	v_add_f64 v[8:9], v[8:9], -v[15:16]
	v_add_f64 v[6:7], v[6:7], v[13:14]
	s_delay_alu instid0(VALU_DEP_4) | instskip(NEXT) | instid1(VALU_DEP_4)
	v_mul_f64 v[10:11], v[10:11], 0.5
	v_mul_f64 v[15:16], v[17:18], 0.5
	s_delay_alu instid0(VALU_DEP_4) | instskip(SKIP_1) | instid1(VALU_DEP_3)
	v_mul_f64 v[8:9], v[8:9], 0.5
	s_waitcnt vmcnt(0)
	v_mul_f64 v[13:14], v[10:11], v[4:5]
	s_delay_alu instid0(VALU_DEP_2) | instskip(SKIP_1) | instid1(VALU_DEP_3)
	v_fma_f64 v[17:18], v[15:16], v[4:5], v[8:9]
	v_fma_f64 v[4:5], v[15:16], v[4:5], -v[8:9]
	v_fma_f64 v[8:9], v[6:7], 0.5, v[13:14]
	v_fma_f64 v[13:14], v[6:7], 0.5, -v[13:14]
	s_delay_alu instid0(VALU_DEP_4) | instskip(NEXT) | instid1(VALU_DEP_4)
	v_fma_f64 v[6:7], -v[2:3], v[10:11], v[17:18]
	v_fma_f64 v[10:11], -v[2:3], v[10:11], v[4:5]
	s_delay_alu instid0(VALU_DEP_4) | instskip(NEXT) | instid1(VALU_DEP_4)
	v_fma_f64 v[4:5], v[15:16], v[2:3], v[8:9]
	v_fma_f64 v[8:9], -v[15:16], v[2:3], v[13:14]
	ds_store_b128 v100, v[4:7] offset:7488
	ds_store_b128 v12, v[8:11] offset:8736
.LBB0_23:
	s_or_b32 exec_lo, exec_lo, s1
	s_waitcnt lgkmcnt(0)
	s_barrier
	buffer_gl0_inv
	s_and_saveexec_b32 s0, vcc_lo
	s_cbranch_execz .LBB0_26
; %bb.24:
	ds_load_b128 v[4:7], v100
	ds_load_b128 v[8:11], v100 offset:1248
	v_add_co_u32 v2, vcc_lo, s8, v74
	v_add_co_ci_u32_e32 v3, vcc_lo, s9, v75, vcc_lo
	ds_load_b128 v[12:15], v100 offset:2496
	ds_load_b128 v[16:19], v100 offset:3744
	;; [unrolled: 1-line block ×4, first 2 shown]
	v_add_co_u32 v0, vcc_lo, v2, v0
	v_add_co_ci_u32_e32 v1, vcc_lo, v3, v1, vcc_lo
	ds_load_b128 v[28:31], v100 offset:7488
	ds_load_b128 v[32:35], v100 offset:8736
	v_add_co_u32 v48, vcc_lo, 0x1000, v0
	v_add_co_ci_u32_e32 v49, vcc_lo, 0, v1, vcc_lo
	s_waitcnt lgkmcnt(7)
	global_store_b128 v[0:1], v[4:7], off
	s_waitcnt lgkmcnt(6)
	global_store_b128 v[0:1], v[8:11], off offset:1248
	ds_load_b128 v[4:7], v100 offset:9984
	ds_load_b128 v[8:11], v100 offset:11232
	;; [unrolled: 1-line block ×5, first 2 shown]
	s_waitcnt lgkmcnt(10)
	global_store_b128 v[0:1], v[12:15], off offset:2496
	s_waitcnt lgkmcnt(9)
	global_store_b128 v[0:1], v[16:19], off offset:3744
	;; [unrolled: 2-line block ×4, first 2 shown]
	v_add_co_u32 v12, vcc_lo, 0x2000, v0
	v_add_co_ci_u32_e32 v13, vcc_lo, 0, v1, vcc_lo
	v_add_co_u32 v0, vcc_lo, 0x3000, v0
	v_add_co_ci_u32_e32 v1, vcc_lo, 0, v1, vcc_lo
	v_cmp_eq_u32_e32 vcc_lo, 0x4d, v72
	s_waitcnt lgkmcnt(6)
	global_store_b128 v[48:49], v[28:31], off offset:3392
	s_waitcnt lgkmcnt(5)
	global_store_b128 v[12:13], v[32:35], off offset:544
	s_waitcnt lgkmcnt(4)
	global_store_b128 v[12:13], v[4:7], off offset:1792
	s_waitcnt lgkmcnt(3)
	global_store_b128 v[12:13], v[8:11], off offset:3040
	s_waitcnt lgkmcnt(2)
	global_store_b128 v[0:1], v[36:39], off offset:192
	s_waitcnt lgkmcnt(1)
	global_store_b128 v[0:1], v[40:43], off offset:1440
	s_waitcnt lgkmcnt(0)
	global_store_b128 v[0:1], v[44:47], off offset:2688
	s_and_b32 exec_lo, exec_lo, vcc_lo
	s_cbranch_execz .LBB0_26
; %bb.25:
	ds_load_b128 v[4:7], v100 offset:14992
	v_add_co_u32 v0, vcc_lo, 0x3000, v2
	v_add_co_ci_u32_e32 v1, vcc_lo, 0, v3, vcc_lo
	s_waitcnt lgkmcnt(0)
	global_store_b128 v[0:1], v[4:7], off offset:3936
.LBB0_26:
	s_nop 0
	s_sendmsg sendmsg(MSG_DEALLOC_VGPRS)
	s_endpgm
	.section	.rodata,"a",@progbits
	.p2align	6, 0x0
	.amdhsa_kernel fft_rtc_back_len1014_factors_13_6_13_wgs_156_tpt_78_dp_ip_CI_unitstride_sbrr_R2C_dirReg
		.amdhsa_group_segment_fixed_size 0
		.amdhsa_private_segment_fixed_size 0
		.amdhsa_kernarg_size 88
		.amdhsa_user_sgpr_count 15
		.amdhsa_user_sgpr_dispatch_ptr 0
		.amdhsa_user_sgpr_queue_ptr 0
		.amdhsa_user_sgpr_kernarg_segment_ptr 1
		.amdhsa_user_sgpr_dispatch_id 0
		.amdhsa_user_sgpr_private_segment_size 0
		.amdhsa_wavefront_size32 1
		.amdhsa_uses_dynamic_stack 0
		.amdhsa_enable_private_segment 0
		.amdhsa_system_sgpr_workgroup_id_x 1
		.amdhsa_system_sgpr_workgroup_id_y 0
		.amdhsa_system_sgpr_workgroup_id_z 0
		.amdhsa_system_sgpr_workgroup_info 0
		.amdhsa_system_vgpr_workitem_id 0
		.amdhsa_next_free_vgpr 251
		.amdhsa_next_free_sgpr 42
		.amdhsa_reserve_vcc 1
		.amdhsa_float_round_mode_32 0
		.amdhsa_float_round_mode_16_64 0
		.amdhsa_float_denorm_mode_32 3
		.amdhsa_float_denorm_mode_16_64 3
		.amdhsa_dx10_clamp 1
		.amdhsa_ieee_mode 1
		.amdhsa_fp16_overflow 0
		.amdhsa_workgroup_processor_mode 1
		.amdhsa_memory_ordered 1
		.amdhsa_forward_progress 0
		.amdhsa_shared_vgpr_count 0
		.amdhsa_exception_fp_ieee_invalid_op 0
		.amdhsa_exception_fp_denorm_src 0
		.amdhsa_exception_fp_ieee_div_zero 0
		.amdhsa_exception_fp_ieee_overflow 0
		.amdhsa_exception_fp_ieee_underflow 0
		.amdhsa_exception_fp_ieee_inexact 0
		.amdhsa_exception_int_div_zero 0
	.end_amdhsa_kernel
	.text
.Lfunc_end0:
	.size	fft_rtc_back_len1014_factors_13_6_13_wgs_156_tpt_78_dp_ip_CI_unitstride_sbrr_R2C_dirReg, .Lfunc_end0-fft_rtc_back_len1014_factors_13_6_13_wgs_156_tpt_78_dp_ip_CI_unitstride_sbrr_R2C_dirReg
                                        ; -- End function
	.section	.AMDGPU.csdata,"",@progbits
; Kernel info:
; codeLenInByte = 14944
; NumSgprs: 44
; NumVgprs: 251
; ScratchSize: 0
; MemoryBound: 0
; FloatMode: 240
; IeeeMode: 1
; LDSByteSize: 0 bytes/workgroup (compile time only)
; SGPRBlocks: 5
; VGPRBlocks: 31
; NumSGPRsForWavesPerEU: 44
; NumVGPRsForWavesPerEU: 251
; Occupancy: 5
; WaveLimiterHint : 1
; COMPUTE_PGM_RSRC2:SCRATCH_EN: 0
; COMPUTE_PGM_RSRC2:USER_SGPR: 15
; COMPUTE_PGM_RSRC2:TRAP_HANDLER: 0
; COMPUTE_PGM_RSRC2:TGID_X_EN: 1
; COMPUTE_PGM_RSRC2:TGID_Y_EN: 0
; COMPUTE_PGM_RSRC2:TGID_Z_EN: 0
; COMPUTE_PGM_RSRC2:TIDIG_COMP_CNT: 0
	.text
	.p2alignl 7, 3214868480
	.fill 96, 4, 3214868480
	.type	__hip_cuid_78dd13aee62cbc40,@object ; @__hip_cuid_78dd13aee62cbc40
	.section	.bss,"aw",@nobits
	.globl	__hip_cuid_78dd13aee62cbc40
__hip_cuid_78dd13aee62cbc40:
	.byte	0                               ; 0x0
	.size	__hip_cuid_78dd13aee62cbc40, 1

	.ident	"AMD clang version 19.0.0git (https://github.com/RadeonOpenCompute/llvm-project roc-6.4.0 25133 c7fe45cf4b819c5991fe208aaa96edf142730f1d)"
	.section	".note.GNU-stack","",@progbits
	.addrsig
	.addrsig_sym __hip_cuid_78dd13aee62cbc40
	.amdgpu_metadata
---
amdhsa.kernels:
  - .args:
      - .actual_access:  read_only
        .address_space:  global
        .offset:         0
        .size:           8
        .value_kind:     global_buffer
      - .offset:         8
        .size:           8
        .value_kind:     by_value
      - .actual_access:  read_only
        .address_space:  global
        .offset:         16
        .size:           8
        .value_kind:     global_buffer
      - .actual_access:  read_only
        .address_space:  global
        .offset:         24
        .size:           8
        .value_kind:     global_buffer
      - .offset:         32
        .size:           8
        .value_kind:     by_value
      - .actual_access:  read_only
        .address_space:  global
        .offset:         40
        .size:           8
        .value_kind:     global_buffer
      - .actual_access:  read_only
        .address_space:  global
        .offset:         48
        .size:           8
        .value_kind:     global_buffer
      - .offset:         56
        .size:           4
        .value_kind:     by_value
      - .actual_access:  read_only
        .address_space:  global
        .offset:         64
        .size:           8
        .value_kind:     global_buffer
      - .actual_access:  read_only
        .address_space:  global
        .offset:         72
        .size:           8
        .value_kind:     global_buffer
      - .address_space:  global
        .offset:         80
        .size:           8
        .value_kind:     global_buffer
    .group_segment_fixed_size: 0
    .kernarg_segment_align: 8
    .kernarg_segment_size: 88
    .language:       OpenCL C
    .language_version:
      - 2
      - 0
    .max_flat_workgroup_size: 156
    .name:           fft_rtc_back_len1014_factors_13_6_13_wgs_156_tpt_78_dp_ip_CI_unitstride_sbrr_R2C_dirReg
    .private_segment_fixed_size: 0
    .sgpr_count:     44
    .sgpr_spill_count: 0
    .symbol:         fft_rtc_back_len1014_factors_13_6_13_wgs_156_tpt_78_dp_ip_CI_unitstride_sbrr_R2C_dirReg.kd
    .uniform_work_group_size: 1
    .uses_dynamic_stack: false
    .vgpr_count:     251
    .vgpr_spill_count: 0
    .wavefront_size: 32
    .workgroup_processor_mode: 1
amdhsa.target:   amdgcn-amd-amdhsa--gfx1100
amdhsa.version:
  - 1
  - 2
...

	.end_amdgpu_metadata
